;; amdgpu-corpus repo=ROCm/rocFFT kind=compiled arch=gfx950 opt=O3
	.text
	.amdgcn_target "amdgcn-amd-amdhsa--gfx950"
	.amdhsa_code_object_version 6
	.protected	bluestein_single_back_len3200_dim1_sp_op_CI_CI ; -- Begin function bluestein_single_back_len3200_dim1_sp_op_CI_CI
	.globl	bluestein_single_back_len3200_dim1_sp_op_CI_CI
	.p2align	8
	.type	bluestein_single_back_len3200_dim1_sp_op_CI_CI,@function
bluestein_single_back_len3200_dim1_sp_op_CI_CI: ; @bluestein_single_back_len3200_dim1_sp_op_CI_CI
; %bb.0:
	s_load_dwordx4 s[4:7], s[0:1], 0x28
	v_mul_u32_u24_e32 v1, 0x19a, v0
	v_add_u32_sdwa v192, s2, v1 dst_sel:DWORD dst_unused:UNUSED_PAD src0_sel:DWORD src1_sel:WORD_1
	v_mov_b32_e32 v193, 0
	s_waitcnt lgkmcnt(0)
	v_cmp_gt_u64_e32 vcc, s[4:5], v[192:193]
	s_and_saveexec_b64 s[2:3], vcc
	s_cbranch_execz .LBB0_2
; %bb.1:
	s_load_dwordx4 s[12:15], s[0:1], 0x18
	s_load_dwordx4 s[8:11], s[0:1], 0x0
	v_mov_b32_e32 v2, s6
	v_mov_b32_e32 v3, s7
	s_movk_i32 s2, 0xa0
	s_waitcnt lgkmcnt(0)
	s_load_dwordx4 s[4:7], s[14:15], 0x0
	v_mul_lo_u16_sdwa v1, v1, s2 dst_sel:DWORD dst_unused:UNUSED_PAD src0_sel:WORD_1 src1_sel:DWORD
	s_load_dwordx4 s[12:15], s[12:13], 0x0
	v_sub_u16_e32 v122, v0, v1
	v_mov_b32_e32 v129, 0xa00
	s_waitcnt lgkmcnt(0)
	v_mad_u64_u32 v[4:5], s[2:3], s6, v192, 0
	v_mov_b32_e32 v0, v5
	v_mad_u64_u32 v[0:1], s[2:3], s7, v192, v[0:1]
	v_accvgpr_write_b32 a2, v0
	v_mad_u64_u32 v[0:1], s[2:3], s14, v192, 0
	v_accvgpr_write_b32 a0, v4
	v_mov_b32_e32 v4, v1
	v_mad_u64_u32 v[4:5], s[2:3], s15, v192, v[4:5]
	v_mov_b32_e32 v1, v4
	v_mad_u64_u32 v[4:5], s[2:3], s12, v122, 0
	;; [unrolled: 2-line block ×3, first 2 shown]
	v_mov_b32_e32 v5, v6
	v_lshl_add_u64 v[2:3], v[0:1], 3, v[2:3]
	v_lshl_add_u64 v[6:7], v[4:5], 3, v[2:3]
	global_load_dwordx2 v[4:5], v[6:7], off
	v_mad_u64_u32 v[6:7], s[2:3], s12, v129, v[6:7]
	v_lshlrev_b32_e32 v192, 3, v122
	s_mul_i32 s2, s13, 0xa00
	v_lshl_add_u64 v[0:1], s[8:9], 0, v[192:193]
	global_load_dwordx2 v[130:131], v192, s[8:9]
	v_add_u32_e32 v7, s2, v7
	s_movk_i32 s3, 0x1000
	global_load_dwordx2 v[8:9], v[6:7], off
	global_load_dwordx2 v[182:183], v192, s[8:9] offset:2560
	v_add_co_u32_e32 v14, vcc, s3, v0
	v_mad_u64_u32 v[12:13], s[6:7], s12, v129, v[6:7]
	s_nop 0
	v_addc_co_u32_e32 v15, vcc, 0, v1, vcc
	v_add_u32_e32 v13, s2, v13
	global_load_dwordx2 v[172:173], v[14:15], off offset:1024
	global_load_dwordx2 v[10:11], v[12:13], off
	v_or_b32_e32 v18, 0x500, v122
	v_mad_u64_u32 v[16:17], s[6:7], s12, v18, 0
	v_mov_b32_e32 v6, v17
	s_movk_i32 s20, 0x3000
	v_mad_u64_u32 v[6:7], s[16:17], s13, v18, v[6:7]
	v_mad_u64_u32 v[12:13], s[16:17], s12, v129, v[12:13]
	v_lshlrev_b32_e32 v74, 3, v18
	v_mov_b32_e32 v17, v6
	v_add_co_u32_e32 v6, vcc, s20, v0
	v_add_u32_e32 v13, s2, v13
	v_mov_b32_e32 v26, 0x1400
	s_mul_i32 s6, s13, 0x1400
	v_accvgpr_write_b32 a1, v18
	global_load_dwordx2 v[180:181], v192, s[8:9] offset:3840
	global_load_dwordx2 v[178:179], v192, s[8:9] offset:1280
	v_addc_co_u32_e32 v7, vcc, 0, v1, vcc
	v_lshl_add_u64 v[16:17], v[16:17], 3, v[2:3]
	global_load_dwordx2 v[148:149], v74, s[8:9]
	global_load_dwordx2 v[146:147], v[6:7], off offset:512
	global_load_dwordx2 v[154:155], v[14:15], off offset:3584
	;; [unrolled: 1-line block ×4, first 2 shown]
	global_load_dwordx2 v[18:19], v[16:17], off
	v_mad_u64_u32 v[14:15], s[16:17], s12, v26, v[12:13]
	v_add_u32_e32 v15, s6, v15
	global_load_dwordx2 v[16:17], v[12:13], off
	global_load_dwordx2 v[20:21], v[14:15], off
	v_or_b32_e32 v27, 0xa00, v122
	v_mad_u64_u32 v[12:13], s[16:17], s12, v129, v[14:15]
	v_add_u32_e32 v13, s2, v13
	s_movk_i32 s21, 0x4000
	global_load_dwordx2 v[14:15], v[12:13], off
	v_mad_u64_u32 v[12:13], s[16:17], s12, v129, v[12:13]
	s_add_u32 s14, s8, 0x6400
	v_add_u32_e32 v13, s2, v13
	v_lshlrev_b32_e32 v75, 3, v27
	s_addc_u32 s15, s9, 0
	global_load_dwordx2 v[156:157], v75, s[8:9]
	s_movk_i32 s22, 0x5000
	v_accvgpr_write_b32 a3, v27
	s_movk_i32 s23, 0x2000
	v_add_u32_e32 v185, 0x1400, v192
	v_add_u32_e32 v128, 0x2800, v192
	;; [unrolled: 1-line block ×9, first 2 shown]
	s_mov_b32 s18, 0xbf167918
	s_mov_b64 s[24:25], 0xa0
	s_load_dwordx2 s[0:1], s[0:1], 0x38
	s_waitcnt vmcnt(16)
	v_mul_f32_e32 v22, v5, v131
	v_mul_f32_e32 v23, v4, v131
	v_fmac_f32_e32 v22, v4, v130
	v_fma_f32 v23, v5, v130, -v23
	s_waitcnt vmcnt(14)
	v_mul_f32_e32 v4, v9, v183
	v_mul_f32_e32 v5, v8, v183
	v_fmac_f32_e32 v4, v8, v182
	v_fma_f32 v5, v9, v182, -v5
	ds_write_b64 v192, v[4:5] offset:2560
	v_add_co_u32_e32 v8, vcc, s21, v0
	s_waitcnt vmcnt(12)
	v_mul_f32_e32 v4, v11, v173
	v_mul_f32_e32 v5, v10, v173
	v_fmac_f32_e32 v4, v10, v172
	v_fma_f32 v5, v11, v172, -v5
	v_mad_u64_u32 v[10:11], s[16:17], s12, v27, 0
	v_mov_b32_e32 v24, v11
	v_mad_u64_u32 v[24:25], s[16:17], s13, v27, v[24:25]
	v_addc_co_u32_e32 v9, vcc, 0, v1, vcc
	v_mov_b32_e32 v11, v24
	ds_write_b64 v192, v[4:5] offset:5120
	global_load_dwordx2 v[4:5], v[12:13], off
	global_load_dwordx2 v[158:159], v[8:9], off offset:1536
	v_lshl_add_u64 v[2:3], v[10:11], 3, v[2:3]
	v_mad_u64_u32 v[10:11], s[8:9], s12, v26, v[12:13]
	v_add_u32_e32 v11, s6, v11
	v_mov_b32_e32 v26, 0xffffab00
	global_load_dwordx2 v[2:3], v[2:3], off
	v_add_co_u32_e32 v24, vcc, s22, v0
	global_load_dwordx2 v[12:13], v[10:11], off
	v_mad_u64_u32 v[10:11], s[6:7], s12, v26, v[10:11]
	v_addc_co_u32_e32 v25, vcc, 0, v1, vcc
	s_mul_i32 s6, s13, 0xffffab00
	global_load_dwordx2 v[150:151], v[24:25], off offset:2560
	s_sub_i32 s6, s6, s12
	v_add_u32_e32 v11, s6, v11
	global_load_dwordx2 v[26:27], v[10:11], off
	v_mad_u64_u32 v[10:11], s[6:7], s12, v129, v[10:11]
	v_add_u32_e32 v11, s2, v11
	global_load_dwordx2 v[28:29], v[10:11], off
	v_mad_u64_u32 v[10:11], s[6:7], s12, v129, v[10:11]
	;; [unrolled: 3-line block ×3, first 2 shown]
	v_add_co_u32_e32 v0, vcc, s23, v0
	v_add_u32_e32 v11, s2, v11
	s_nop 0
	v_addc_co_u32_e32 v1, vcc, 0, v1, vcc
	global_load_dwordx2 v[32:33], v[10:11], off
	global_load_dwordx2 v[140:141], v[0:1], off offset:768
	v_mad_u64_u32 v[10:11], s[6:7], s12, v129, v[10:11]
	v_add_u32_e32 v11, s2, v11
	global_load_dwordx2 v[34:35], v[10:11], off
	global_load_dwordx2 v[138:139], v[0:1], off offset:3328
	v_mad_u64_u32 v[0:1], s[6:7], s12, v129, v[10:11]
	v_add_u32_e32 v1, s2, v1
	;; [unrolled: 4-line block ×3, first 2 shown]
	global_load_dwordx2 v[6:7], v[0:1], off
	global_load_dwordx2 v[134:135], v[8:9], off offset:2816
	global_load_dwordx2 v[144:145], v[8:9], off offset:256
	v_mad_u64_u32 v[0:1], s[6:7], s12, v129, v[0:1]
	v_add_u32_e32 v1, s2, v1
	global_load_dwordx2 v[8:9], v[0:1], off
	v_mad_u64_u32 v[0:1], s[6:7], s12, v129, v[0:1]
	v_add_u32_e32 v1, s2, v1
	global_load_dwordx2 v[36:37], v[0:1], off
	global_load_dwordx2 v[132:133], v[24:25], off offset:3840
	global_load_dwordx2 v[142:143], v[24:25], off offset:1280
	v_mad_u64_u32 v[0:1], s[6:7], s12, v129, v[0:1]
	v_add_u32_e32 v1, s2, v1
	global_load_dwordx2 v[0:1], v[0:1], off
	s_waitcnt vmcnt(25)
	v_mul_f32_e32 v24, v17, v155
	v_mul_f32_e32 v25, v16, v155
	v_fmac_f32_e32 v24, v16, v154
	v_fma_f32 v25, v17, v154, -v25
	v_mul_f32_e32 v16, v19, v149
	v_mul_f32_e32 v17, v18, v149
	v_fmac_f32_e32 v16, v18, v148
	v_fma_f32 v17, v19, v148, -v17
	ds_write_b64 v192, v[16:17] offset:10240
	s_waitcnt vmcnt(24)
	v_mul_f32_e32 v16, v21, v147
	v_mul_f32_e32 v17, v20, v147
	v_fmac_f32_e32 v16, v20, v146
	v_fma_f32 v17, v21, v146, -v17
	ds_write_b64 v192, v[16:17] offset:12800
	s_waitcnt vmcnt(23)
	v_mul_f32_e32 v16, v15, v153
	v_fmac_f32_e32 v16, v14, v152
	v_mul_f32_e32 v14, v14, v153
	v_fma_f32 v17, v15, v152, -v14
	ds_write_b64 v192, v[24:25] offset:7680
	ds_write_b64 v192, v[16:17] offset:15360
	s_waitcnt vmcnt(20)
	v_mul_f32_e32 v14, v5, v159
	v_fmac_f32_e32 v14, v4, v158
	v_mul_f32_e32 v4, v4, v159
	v_fma_f32 v15, v5, v158, -v4
	ds_write_b64 v192, v[14:15] offset:17920
	s_mov_b32 s6, 0x3f737871
	s_waitcnt vmcnt(19)
	v_mul_f32_e32 v4, v3, v157
	v_fmac_f32_e32 v4, v2, v156
	v_mul_f32_e32 v2, v2, v157
	v_fma_f32 v5, v3, v156, -v2
	ds_write_b64 v192, v[4:5] offset:20480
	s_mov_b32 s8, 0x3f167918
	s_mov_b32 s2, 0x3e9e377a
	;; [unrolled: 1-line block ×4, first 2 shown]
	s_waitcnt vmcnt(17)
	v_mul_f32_e32 v2, v13, v151
	v_mul_f32_e32 v3, v12, v151
	v_fmac_f32_e32 v2, v12, v150
	v_fma_f32 v3, v13, v150, -v3
	ds_write_b64 v192, v[2:3] offset:23040
	s_waitcnt vmcnt(16)
	v_mul_f32_e32 v2, v27, v179
	v_mul_f32_e32 v3, v26, v179
	v_fmac_f32_e32 v2, v26, v178
	v_fma_f32 v3, v27, v178, -v3
	ds_write2_b64 v192, v[22:23], v[2:3] offset1:160
	s_waitcnt vmcnt(15)
	v_mul_f32_e32 v2, v29, v181
	v_mul_f32_e32 v3, v28, v181
	v_fmac_f32_e32 v2, v28, v180
	v_fma_f32 v3, v29, v180, -v3
	ds_write_b64 v192, v[2:3] offset:3840
	s_waitcnt vmcnt(14)
	v_mul_f32_e32 v2, v31, v175
	v_mul_f32_e32 v3, v30, v175
	v_fmac_f32_e32 v2, v30, v174
	v_fma_f32 v3, v31, v174, -v3
	ds_write_b64 v192, v[2:3] offset:6400
	s_waitcnt vmcnt(12)
	v_mul_f32_e32 v2, v33, v141
	v_mul_f32_e32 v3, v32, v141
	v_fmac_f32_e32 v2, v32, v140
	v_fma_f32 v3, v33, v140, -v3
	ds_write_b64 v192, v[2:3] offset:8960
	s_waitcnt vmcnt(10)
	v_mul_f32_e32 v2, v35, v139
	v_mul_f32_e32 v3, v34, v139
	v_fmac_f32_e32 v2, v34, v138
	v_fma_f32 v3, v35, v138, -v3
	ds_write_b64 v192, v[2:3] offset:11520
	s_waitcnt vmcnt(8)
	v_mul_f32_e32 v2, v11, v137
	v_mul_f32_e32 v3, v10, v137
	v_fmac_f32_e32 v2, v10, v136
	v_fma_f32 v3, v11, v136, -v3
	ds_write_b64 v192, v[2:3] offset:14080
	s_waitcnt vmcnt(5)
	v_mul_f32_e32 v2, v7, v145
	v_mul_f32_e32 v3, v6, v145
	v_fmac_f32_e32 v2, v6, v144
	v_fma_f32 v3, v7, v144, -v3
	ds_write_b64 v192, v[2:3] offset:16640
	s_waitcnt vmcnt(4)
	v_mul_f32_e32 v2, v9, v135
	v_mul_f32_e32 v3, v8, v135
	v_fmac_f32_e32 v2, v8, v134
	v_fma_f32 v3, v9, v134, -v3
	ds_write_b64 v192, v[2:3] offset:19200
	s_waitcnt vmcnt(1)
	v_mul_f32_e32 v2, v37, v143
	v_mul_f32_e32 v3, v36, v143
	v_fmac_f32_e32 v2, v36, v142
	v_fma_f32 v3, v37, v142, -v3
	ds_write_b64 v192, v[2:3] offset:21760
	s_waitcnt vmcnt(0)
	v_mul_f32_e32 v2, v1, v133
	v_fmac_f32_e32 v2, v0, v132
	v_mul_f32_e32 v0, v0, v133
	v_fma_f32 v3, v1, v132, -v0
	ds_write_b64 v192, v[2:3] offset:24320
	s_waitcnt lgkmcnt(0)
	s_barrier
	ds_read2_b64 v[0:3], v192 offset1:160
	ds_read2_b64 v[18:21], v185 offset1:160
	ds_read2_b64 v[22:25], v128 offset1:160
	ds_read2_b64 v[26:29], v233 offset1:160
	ds_read2_b64 v[30:33], v188 offset1:160
	s_mov_b32 s12, 0x3f4f1bbd
	s_waitcnt lgkmcnt(3)
	v_pk_add_f32 v[4:5], v[2:3], v[20:21]
	s_waitcnt lgkmcnt(2)
	v_pk_add_f32 v[8:9], v[18:19], v[22:23] neg_lo:[0,1] neg_hi:[0,1]
	v_pk_add_f32 v[10:11], v[4:5], v[24:25]
	v_pk_add_f32 v[4:5], v[0:1], v[18:19]
	s_waitcnt lgkmcnt(1)
	v_pk_add_f32 v[6:7], v[22:23], v[26:27] neg_lo:[0,1] neg_hi:[0,1]
	v_pk_add_f32 v[34:35], v[4:5], v[22:23]
	v_pk_add_f32 v[4:5], v[22:23], v[26:27]
	v_pk_add_f32 v[12:13], v[22:23], v[18:19] neg_lo:[0,1] neg_hi:[0,1]
	v_pk_add_f32 v[22:23], v[34:35], v[26:27]
	v_pk_add_f32 v[42:43], v[24:25], v[28:29]
	v_pk_add_f32 v[14:15], v[24:25], v[28:29] neg_lo:[0,1] neg_hi:[0,1]
	v_pk_add_f32 v[16:17], v[20:21], v[24:25] neg_lo:[0,1] neg_hi:[0,1]
	;; [unrolled: 1-line block ×3, first 2 shown]
	s_waitcnt lgkmcnt(0)
	v_pk_add_f32 v[46:47], v[18:19], v[30:31] neg_lo:[0,1] neg_hi:[0,1]
	v_pk_add_f32 v[48:49], v[18:19], v[30:31]
	v_pk_add_f32 v[18:19], v[20:21], v[32:33] neg_lo:[0,1] neg_hi:[0,1]
	v_pk_add_f32 v[50:51], v[20:21], v[32:33]
	v_pk_add_f32 v[10:11], v[10:11], v[28:29]
	v_pk_add_f32 v[52:53], v[30:31], v[26:27] neg_lo:[0,1] neg_hi:[0,1]
	v_pk_add_f32 v[54:55], v[26:27], v[30:31] neg_lo:[0,1] neg_hi:[0,1]
	v_pk_add_f32 v[20:21], v[32:33], v[28:29] neg_lo:[0,1] neg_hi:[0,1]
	v_pk_add_f32 v[56:57], v[28:29], v[32:33] neg_lo:[0,1] neg_hi:[0,1]
	v_pk_add_f32 v[58:59], v[22:23], v[30:31]
	ds_read2_b64 v[22:25], v209 offset0:64 offset1:224
	ds_read2_b64 v[26:29], v195 offset0:64 offset1:224
	v_pk_add_f32 v[10:11], v[10:11], v[32:33]
	ds_read2_b64 v[30:33], v189 offset0:64 offset1:224
	ds_read2_b64 v[34:37], v191 offset0:64 offset1:224
	;; [unrolled: 1-line block ×3, first 2 shown]
	s_waitcnt lgkmcnt(3)
	v_pk_add_f32 v[62:63], v[22:23], v[26:27]
	v_pk_add_f32 v[60:61], v[24:25], v[28:29]
	s_waitcnt lgkmcnt(2)
	v_pk_add_f32 v[72:73], v[28:29], v[32:33] neg_lo:[0,1] neg_hi:[0,1]
	v_pk_add_f32 v[76:77], v[28:29], v[32:33]
	s_waitcnt lgkmcnt(1)
	v_pk_add_f32 v[78:79], v[36:37], v[28:29] neg_lo:[0,1] neg_hi:[0,1]
	v_pk_add_f32 v[80:81], v[28:29], v[36:37] neg_lo:[0,1] neg_hi:[0,1]
	v_pk_add_f32 v[28:29], v[62:63], v[34:35]
	v_pk_add_f32 v[64:65], v[26:27], v[30:31] neg_lo:[0,1] neg_hi:[0,1]
	v_pk_add_f32 v[66:67], v[26:27], v[30:31]
	v_pk_add_f32 v[68:69], v[34:35], v[26:27] neg_lo:[0,1] neg_hi:[0,1]
	v_pk_add_f32 v[70:71], v[26:27], v[34:35] neg_lo:[0,1] neg_hi:[0,1]
	v_pk_add_f32 v[26:27], v[60:61], v[36:37]
	s_waitcnt lgkmcnt(0)
	v_pk_add_f32 v[60:61], v[34:35], v[38:39] neg_lo:[0,1] neg_hi:[0,1]
	v_pk_add_f32 v[28:29], v[28:29], v[38:39]
	v_pk_add_f32 v[34:35], v[34:35], v[38:39]
	v_pk_add_f32 v[62:63], v[36:37], v[40:41] neg_lo:[0,1] neg_hi:[0,1]
	v_pk_add_f32 v[36:37], v[36:37], v[40:41]
	v_pk_add_f32 v[26:27], v[26:27], v[40:41]
	v_pk_add_f32 v[82:83], v[38:39], v[30:31] neg_lo:[0,1] neg_hi:[0,1]
	v_pk_add_f32 v[38:39], v[30:31], v[38:39] neg_lo:[0,1] neg_hi:[0,1]
	;; [unrolled: 1-line block ×4, first 2 shown]
	v_pk_add_f32 v[30:31], v[28:29], v[30:31]
	v_pk_fma_f32 v[28:29], v[66:67], 0.5, v[22:23] op_sel_hi:[1,0,1] neg_lo:[1,0,0] neg_hi:[1,0,0]
	v_pk_mul_f32 v[40:41], v[60:61], s[6:7] op_sel_hi:[1,0]
	v_pk_add_f32 v[12:13], v[12:13], v[54:55]
	v_pk_add_f32 v[54:55], v[28:29], v[40:41] op_sel:[0,1] op_sel_hi:[1,0] neg_lo:[0,1] neg_hi:[0,1]
	v_pk_add_f32 v[28:29], v[28:29], v[40:41] op_sel:[0,1] op_sel_hi:[1,0]
	v_pk_mul_f32 v[40:41], v[64:65], s[8:9] op_sel_hi:[1,0]
	v_pk_add_f32 v[32:33], v[26:27], v[32:33]
	v_pk_add_f32 v[28:29], v[28:29], v[40:41] op_sel:[0,1] op_sel_hi:[1,0] neg_lo:[0,1] neg_hi:[0,1]
	v_pk_add_f32 v[40:41], v[54:55], v[40:41] op_sel:[0,1] op_sel_hi:[1,0]
	v_pk_add_f32 v[26:27], v[68:69], v[82:83]
	v_mov_b32_e32 v54, v40
	v_mov_b32_e32 v55, v29
	v_pk_fma_f32 v[54:55], v[26:27], s[2:3], v[54:55] op_sel_hi:[1,0,1]
	v_pk_fma_f32 v[48:49], v[48:49], 0.5, v[0:1] op_sel_hi:[1,0,1] neg_lo:[1,0,0] neg_hi:[1,0,0]
	v_pk_mul_f32 v[66:67], v[54:55], s[6:7] op_sel_hi:[1,0]
	v_mov_b32_e32 v29, v41
	v_pk_fma_f32 v[68:69], v[54:55], s[2:3], v[66:67] op_sel:[0,0,1] op_sel_hi:[1,0,0]
	v_pk_fma_f32 v[54:55], v[54:55], s[2:3], v[66:67] op_sel:[0,0,1] op_sel_hi:[1,0,0] neg_lo:[0,0,1] neg_hi:[0,0,1]
	v_pk_fma_f32 v[26:27], v[26:27], s[2:3], v[28:29] op_sel_hi:[1,0,1]
	v_mov_b32_e32 v69, v55
	v_pk_mul_f32 v[54:55], v[6:7], s[6:7] op_sel_hi:[1,0]
	v_pk_mul_f32 v[28:29], v[26:27], s[2:3] op_sel_hi:[1,0]
	v_pk_add_f32 v[66:67], v[48:49], v[54:55] op_sel:[0,1] op_sel_hi:[1,0] neg_lo:[0,1] neg_hi:[0,1]
	v_pk_add_f32 v[48:49], v[48:49], v[54:55] op_sel:[0,1] op_sel_hi:[1,0]
	v_pk_mul_f32 v[54:55], v[46:47], s[8:9] op_sel_hi:[1,0]
	v_pk_fma_f32 v[40:41], v[26:27], s[16:17], v[28:29] op_sel:[0,0,1] op_sel_hi:[1,1,0] neg_lo:[0,0,1] neg_hi:[0,0,1]
	v_pk_add_f32 v[48:49], v[48:49], v[54:55] op_sel:[0,1] op_sel_hi:[1,0] neg_lo:[0,1] neg_hi:[0,1]
	v_pk_add_f32 v[54:55], v[66:67], v[54:55] op_sel:[0,1] op_sel_hi:[1,0]
	v_mov_b32_e32 v27, v49
	v_mov_b32_e32 v26, v54
	;; [unrolled: 1-line block ×3, first 2 shown]
	v_pk_fma_f32 v[54:55], v[12:13], s[2:3], v[26:27] op_sel_hi:[1,0,1]
	v_pk_fma_f32 v[12:13], v[12:13], s[2:3], v[48:49] op_sel_hi:[1,0,1]
	v_mul_lo_u16_e32 v26, 10, v122
	v_lshlrev_b32_e32 v215, 3, v26
	v_pk_add_f32 v[26:27], v[54:55], v[68:69]
	v_pk_add_f32 v[28:29], v[12:13], v[40:41] op_sel:[0,1] op_sel_hi:[1,0]
	v_pk_fma_f32 v[0:1], v[4:5], 0.5, v[0:1] op_sel_hi:[1,0,1] neg_lo:[1,0,0] neg_hi:[1,0,0]
	v_pk_mul_f32 v[4:5], v[46:47], s[6:7] op_sel_hi:[1,0]
	s_barrier
	ds_write_b128 v215, v[26:29] offset:16
	v_pk_add_f32 v[26:27], v[0:1], v[4:5] op_sel:[0,1] op_sel_hi:[1,0]
	v_pk_add_f32 v[0:1], v[0:1], v[4:5] op_sel:[0,1] op_sel_hi:[1,0] neg_lo:[0,1] neg_hi:[0,1]
	v_pk_mul_f32 v[4:5], v[6:7], s[8:9] op_sel_hi:[1,0]
	v_pk_fma_f32 v[6:7], v[34:35], 0.5, v[22:23] op_sel_hi:[1,0,1] neg_lo:[1,0,0] neg_hi:[1,0,0]
	v_pk_mul_f32 v[22:23], v[64:65], s[6:7] op_sel_hi:[1,0]
	v_pk_add_f32 v[0:1], v[0:1], v[4:5] op_sel:[0,1] op_sel_hi:[1,0] neg_lo:[0,1] neg_hi:[0,1]
	v_pk_add_f32 v[28:29], v[6:7], v[22:23] op_sel:[0,1] op_sel_hi:[1,0]
	v_pk_add_f32 v[6:7], v[6:7], v[22:23] op_sel:[0,1] op_sel_hi:[1,0] neg_lo:[0,1] neg_hi:[0,1]
	v_pk_mul_f32 v[22:23], v[60:61], s[8:9] op_sel_hi:[1,0]
	v_pk_add_f32 v[26:27], v[26:27], v[4:5] op_sel:[0,1] op_sel_hi:[1,0]
	v_pk_add_f32 v[4:5], v[70:71], v[38:39]
	v_pk_add_f32 v[28:29], v[22:23], v[28:29] op_sel:[1,0] op_sel_hi:[0,1]
	v_pk_add_f32 v[6:7], v[6:7], v[22:23] op_sel:[0,1] op_sel_hi:[1,0] neg_lo:[0,1] neg_hi:[0,1]
	s_mov_b32 s9, s12
	v_pk_fma_f32 v[22:23], v[4:5], s[2:3], v[6:7] op_sel_hi:[1,0,1]
	v_mov_b32_e32 v7, v29
	v_pk_fma_f32 v[34:35], v[4:5], s[2:3], v[6:7] op_sel_hi:[1,0,1]
	v_pk_fma_f32 v[28:29], v[4:5], s[2:3], v[28:29] op_sel_hi:[1,0,1]
	v_pk_mul_f32 v[38:39], v[34:35], s[12:13] op_sel_hi:[1,0]
	s_mov_b32 s13, s8
	v_pk_mul_f32 v[4:5], v[28:29], s[12:13] op_sel_hi:[0,1]
	v_pk_fma_f32 v[28:29], v[22:23], s[8:9], v[4:5] op_sel:[1,0,0]
	v_pk_fma_f32 v[4:5], v[22:23], s[8:9], v[4:5] op_sel:[1,0,0] neg_lo:[0,0,1] neg_hi:[0,0,1]
	v_pk_add_f32 v[8:9], v[8:9], v[52:53]
	v_mov_b32_e32 v29, v5
	v_mov_b32_e32 v4, v26
	;; [unrolled: 1-line block ×4, first 2 shown]
	s_mov_b32 s19, s8
	v_pk_fma_f32 v[22:23], v[8:9], s[2:3], v[4:5] op_sel_hi:[1,0,1]
	v_pk_fma_f32 v[0:1], v[8:9], s[2:3], v[0:1] op_sel_hi:[1,0,1]
	v_pk_fma_f32 v[8:9], v[34:35], s[18:19], v[38:39] op_sel:[0,0,1] op_sel_hi:[1,1,0] neg_lo:[0,0,1] neg_hi:[0,0,1]
	v_pk_add_f32 v[4:5], v[58:59], v[30:31]
	v_pk_add_f32 v[6:7], v[22:23], v[28:29]
	v_pk_add_f32 v[26:27], v[0:1], v[8:9] op_sel:[1,0] op_sel_hi:[0,1]
	ds_write_b128 v215, v[4:7]
	v_pk_add_f32 v[6:7], v[58:59], v[30:31] neg_lo:[0,1] neg_hi:[0,1]
	v_mov_b32_e32 v4, v27
	v_mov_b32_e32 v5, v26
	ds_write_b128 v215, v[4:7] offset:32
	v_pk_add_f32 v[4:5], v[22:23], v[28:29] neg_lo:[0,1] neg_hi:[0,1]
	v_pk_add_f32 v[6:7], v[54:55], v[68:69] neg_lo:[0,1] neg_hi:[0,1]
	ds_write_b128 v215, v[4:7] offset:48
	v_pk_add_f32 v[0:1], v[0:1], v[8:9] op_sel:[1,0] op_sel_hi:[0,1] neg_lo:[0,1] neg_hi:[0,1]
	v_pk_add_f32 v[4:5], v[12:13], v[40:41] op_sel:[0,1] op_sel_hi:[1,0] neg_lo:[0,1] neg_hi:[0,1]
	v_pk_fma_f32 v[8:9], v[76:77], 0.5, v[24:25] op_sel_hi:[1,0,1] neg_lo:[1,0,0] neg_hi:[1,0,0]
	v_pk_mul_f32 v[12:13], v[62:63], s[6:7] op_sel_hi:[1,0]
	v_mov_b32_e32 v6, v1
	v_pk_add_f32 v[22:23], v[8:9], v[12:13] op_sel:[0,1] op_sel_hi:[1,0] neg_lo:[0,1] neg_hi:[0,1]
	v_pk_add_f32 v[8:9], v[8:9], v[12:13] op_sel:[0,1] op_sel_hi:[1,0]
	v_pk_mul_f32 v[12:13], v[72:73], s[8:9] op_sel_hi:[1,0]
	v_mov_b32_e32 v7, v0
	v_pk_add_f32 v[8:9], v[8:9], v[12:13] op_sel:[0,1] op_sel_hi:[1,0] neg_lo:[0,1] neg_hi:[0,1]
	v_pk_add_f32 v[12:13], v[22:23], v[12:13] op_sel:[0,1] op_sel_hi:[1,0]
	ds_write_b128 v215, v[4:7] offset:64
	v_pk_add_f32 v[6:7], v[78:79], v[84:85]
	v_mov_b32_e32 v22, v12
	v_mov_b32_e32 v23, v9
	v_pk_fma_f32 v[22:23], v[6:7], s[2:3], v[22:23] op_sel_hi:[1,0,1]
	v_pk_fma_f32 v[0:1], v[50:51], 0.5, v[2:3] op_sel_hi:[1,0,1] neg_lo:[1,0,0] neg_hi:[1,0,0]
	v_pk_mul_f32 v[26:27], v[22:23], s[6:7] op_sel_hi:[1,0]
	v_mov_b32_e32 v9, v13
	v_pk_fma_f32 v[28:29], v[22:23], s[2:3], v[26:27] op_sel:[0,0,1] op_sel_hi:[1,0,0]
	v_pk_fma_f32 v[22:23], v[22:23], s[2:3], v[26:27] op_sel:[0,0,1] op_sel_hi:[1,0,0] neg_lo:[0,0,1] neg_hi:[0,0,1]
	v_pk_fma_f32 v[6:7], v[6:7], s[2:3], v[8:9] op_sel_hi:[1,0,1]
	v_mov_b32_e32 v29, v23
	v_pk_mul_f32 v[22:23], v[14:15], s[6:7] op_sel_hi:[1,0]
	s_mov_b32 s7, 0
	v_pk_add_f32 v[26:27], v[0:1], v[22:23] op_sel:[0,1] op_sel_hi:[1,0] neg_lo:[0,1] neg_hi:[0,1]
	v_pk_add_f32 v[0:1], v[0:1], v[22:23] op_sel:[0,1] op_sel_hi:[1,0]
	v_pk_mul_f32 v[22:23], v[18:19], s[8:9] op_sel_hi:[1,0]
	v_pk_mul_f32 v[8:9], v[6:7], s[2:3] op_sel_hi:[1,0]
	v_pk_add_f32 v[0:1], v[0:1], v[22:23] op_sel:[0,1] op_sel_hi:[1,0] neg_lo:[0,1] neg_hi:[0,1]
	v_pk_add_f32 v[22:23], v[26:27], v[22:23] op_sel:[0,1] op_sel_hi:[1,0]
	v_mov_b32_e32 v123, s7
	v_pk_fma_f32 v[4:5], v[42:43], 0.5, v[2:3] op_sel_hi:[1,0,1] neg_lo:[1,0,0] neg_hi:[1,0,0]
	v_pk_add_f32 v[2:3], v[44:45], v[56:57]
	v_pk_fma_f32 v[6:7], v[6:7], s[16:17], v[8:9] op_sel:[0,0,1] op_sel_hi:[1,1,0] neg_lo:[0,0,1] neg_hi:[0,0,1]
	v_mov_b32_e32 v8, v22
	v_mov_b32_e32 v9, v1
	;; [unrolled: 1-line block ×3, first 2 shown]
	v_lshl_add_u64 v[40:41], v[122:123], 0, s[24:25]
	v_pk_fma_f32 v[8:9], v[2:3], s[2:3], v[8:9] op_sel_hi:[1,0,1]
	v_pk_fma_f32 v[12:13], v[2:3], s[2:3], v[0:1] op_sel_hi:[1,0,1]
	v_mul_u32_u24_e32 v0, 10, v40
	v_lshlrev_b32_e32 v235, 3, v0
	v_pk_add_f32 v[0:1], v[8:9], v[28:29]
	v_pk_add_f32 v[2:3], v[12:13], v[6:7] op_sel:[0,1] op_sel_hi:[1,0]
	ds_write_b128 v235, v[0:3] offset:16
	v_pk_add_f32 v[2:3], v[16:17], v[20:21]
	v_pk_mul_f32 v[16:17], v[18:19], s[6:7] op_sel_hi:[1,0]
	v_pk_mul_f32 v[14:15], v[14:15], s[8:9] op_sel_hi:[1,0]
	v_pk_add_f32 v[18:19], v[4:5], v[16:17] op_sel:[0,1] op_sel_hi:[1,0]
	v_pk_add_f32 v[4:5], v[4:5], v[16:17] op_sel:[0,1] op_sel_hi:[1,0] neg_lo:[0,1] neg_hi:[0,1]
	v_pk_fma_f32 v[0:1], v[36:37], 0.5, v[24:25] op_sel_hi:[1,0,1] neg_lo:[1,0,0] neg_hi:[1,0,0]
	v_pk_add_f32 v[4:5], v[4:5], v[14:15] op_sel:[0,1] op_sel_hi:[1,0] neg_lo:[0,1] neg_hi:[0,1]
	v_pk_add_f32 v[14:15], v[18:19], v[14:15] op_sel:[0,1] op_sel_hi:[1,0]
	v_mov_b32_e32 v19, v5
	v_mov_b32_e32 v18, v14
	;; [unrolled: 1-line block ×3, first 2 shown]
	v_pk_fma_f32 v[14:15], v[2:3], s[2:3], v[18:19] op_sel_hi:[1,0,1]
	v_pk_fma_f32 v[4:5], v[2:3], s[2:3], v[4:5] op_sel_hi:[1,0,1]
	v_pk_mul_f32 v[2:3], v[72:73], s[6:7] op_sel_hi:[1,0]
	v_pk_add_f32 v[16:17], v[80:81], v[86:87]
	v_pk_add_f32 v[18:19], v[0:1], v[2:3] op_sel:[0,1] op_sel_hi:[1,0]
	v_pk_add_f32 v[0:1], v[0:1], v[2:3] op_sel:[0,1] op_sel_hi:[1,0] neg_lo:[0,1] neg_hi:[0,1]
	v_pk_mul_f32 v[2:3], v[62:63], s[8:9] op_sel_hi:[1,0]
	s_movk_i32 s7, 0xcd
	v_pk_add_f32 v[18:19], v[2:3], v[18:19] op_sel:[1,0] op_sel_hi:[0,1]
	v_pk_add_f32 v[0:1], v[0:1], v[2:3] op_sel:[0,1] op_sel_hi:[1,0] neg_lo:[0,1] neg_hi:[0,1]
	s_nop 0
	v_pk_fma_f32 v[2:3], v[16:17], s[2:3], v[0:1] op_sel_hi:[1,0,1]
	v_mov_b32_e32 v1, v19
	v_pk_fma_f32 v[0:1], v[16:17], s[2:3], v[0:1] op_sel_hi:[1,0,1]
	v_pk_fma_f32 v[18:19], v[16:17], s[2:3], v[18:19] op_sel_hi:[1,0,1]
	v_pk_mul_f32 v[16:17], v[0:1], s[12:13] op_sel_hi:[1,0]
	s_nop 0
	v_pk_fma_f32 v[16:17], v[0:1], s[18:19], v[16:17] op_sel:[0,0,1] op_sel_hi:[1,1,0] neg_lo:[0,0,1] neg_hi:[0,0,1]
	v_pk_mul_f32 v[0:1], v[18:19], s[12:13] op_sel_hi:[0,1]
	v_pk_fma_f32 v[18:19], v[2:3], s[8:9], v[0:1] op_sel:[1,0,0]
	v_pk_fma_f32 v[0:1], v[2:3], s[8:9], v[0:1] op_sel:[1,0,0] neg_lo:[0,0,1] neg_hi:[0,0,1]
	v_pk_add_f32 v[20:21], v[4:5], v[16:17] op_sel:[1,0] op_sel_hi:[0,1]
	v_mov_b32_e32 v19, v1
	v_pk_add_f32 v[0:1], v[10:11], v[32:33]
	v_pk_add_f32 v[2:3], v[14:15], v[18:19]
	ds_write_b128 v235, v[0:3]
	v_pk_add_f32 v[2:3], v[10:11], v[32:33] neg_lo:[0,1] neg_hi:[0,1]
	v_mov_b32_e32 v0, v21
	v_mov_b32_e32 v1, v20
	ds_write_b128 v235, v[0:3] offset:32
	v_pk_add_f32 v[0:1], v[14:15], v[18:19] neg_lo:[0,1] neg_hi:[0,1]
	v_pk_add_f32 v[2:3], v[8:9], v[28:29] neg_lo:[0,1] neg_hi:[0,1]
	v_pk_add_f32 v[4:5], v[4:5], v[16:17] op_sel:[1,0] op_sel_hi:[0,1] neg_lo:[0,1] neg_hi:[0,1]
	ds_write_b128 v235, v[0:3] offset:48
	v_pk_add_f32 v[0:1], v[12:13], v[6:7] op_sel:[0,1] op_sel_hi:[1,0] neg_lo:[0,1] neg_hi:[0,1]
	v_mov_b32_e32 v2, v5
	v_mov_b32_e32 v3, v4
	ds_write_b128 v235, v[0:3] offset:64
	v_mul_lo_u16_sdwa v0, v122, s7 dst_sel:DWORD dst_unused:UNUSED_PAD src0_sel:BYTE_0 src1_sel:DWORD
	v_lshrrev_b16_e32 v69, 11, v0
	v_mul_lo_u16_e32 v0, 10, v69
	v_sub_u16_e32 v0, v122, v0
	s_mov_b32 s7, 0xcccd
	v_and_b32_e32 v70, 0xff, v0
	v_mul_u32_u24_sdwa v0, v40, s7 dst_sel:DWORD dst_unused:UNUSED_PAD src0_sel:WORD_0 src1_sel:DWORD
	v_lshrrev_b32_e32 v41, 19, v0
	v_mul_lo_u16_e32 v0, 10, v41
	v_sub_u16_e32 v68, v40, v0
	v_mul_lo_u16_e32 v0, 0x48, v68
	v_mov_b32_e32 v1, v193
	v_lshl_add_u64 v[32:33], s[10:11], 0, v[0:1]
	s_waitcnt lgkmcnt(0)
	s_barrier
	global_load_dwordx4 v[118:121], v[32:33], off
	s_movk_i32 s7, 0x48
	v_mov_b64_e32 v[0:1], s[10:11]
	v_mad_u64_u32 v[34:35], s[24:25], v70, s7, v[0:1]
	global_load_dwordx4 v[124:127], v[34:35], off
	global_load_dwordx4 v[12:15], v[32:33], off offset:16
	global_load_dwordx4 v[112:115], v[34:35], off offset:16
	;; [unrolled: 1-line block ×6, first 2 shown]
	global_load_dwordx2 v[164:165], v[32:33], off offset:64
	global_load_dwordx2 v[166:167], v[34:35], off offset:64
	ds_read2_b64 v[34:37], v209 offset0:64 offset1:224
	ds_read2_b64 v[42:45], v185 offset1:160
	ds_read2_b64 v[60:63], v191 offset0:64 offset1:224
	ds_read2_b64 v[76:79], v188 offset1:160
	s_mov_b32 s24, s8
	s_mov_b32 s25, s18
	v_lshrrev_b16_e32 v2, 2, v40
	v_mul_u32_u24_e32 v2, 0x147b, v2
	v_lshrrev_b32_e32 v2, 17, v2
	v_mul_lo_u16_e32 v3, 0x64, v2
	v_sub_u16_e32 v3, v40, v3
	v_add_u32_e32 v4, 0xffffff9c, v122
	v_mov_b32_e32 v5, 0x190
	s_waitcnt vmcnt(8)
	v_mov_b32_e32 v0, v127
	s_waitcnt lgkmcnt(3)
	v_pk_mul_f32 v[38:39], v[36:37], v[118:119] op_sel_hi:[1,0]
	v_mov_b32_e32 v32, v119
	v_pk_fma_f32 v[32:33], v[36:37], v[32:33], v[38:39] op_sel:[0,0,1] op_sel_hi:[1,1,0]
	v_pk_fma_f32 v[50:51], v[36:37], v[118:119], v[38:39] op_sel:[0,1,1] op_sel_hi:[1,1,0] neg_lo:[1,0,0] neg_hi:[1,0,0]
	v_pk_mul_f32 v[36:37], v[34:35], v[124:125] op_sel:[0,1]
	v_mov_b32_e32 v10, v121
	v_pk_fma_f32 v[72:73], v[34:35], v[124:125], v[36:37] op_sel:[0,0,1] op_sel_hi:[1,1,0] neg_lo:[0,0,1] neg_hi:[0,0,1]
	v_pk_fma_f32 v[82:83], v[34:35], v[124:125], v[36:37] op_sel:[0,0,1] op_sel_hi:[1,0,0]
	s_waitcnt lgkmcnt(2)
	v_pk_mul_f32 v[34:35], v[44:45], v[10:11] op_sel_hi:[1,0]
	s_waitcnt vmcnt(1)
	v_mov_b32_e32 v50, v165
	v_pk_fma_f32 v[36:37], v[44:45], v[120:121], v[34:35] op_sel:[0,0,1] op_sel_hi:[1,1,0] neg_lo:[0,0,1] neg_hi:[0,0,1]
	v_pk_fma_f32 v[52:53], v[44:45], v[120:121], v[34:35] op_sel:[0,0,1] op_sel_hi:[1,0,0]
	ds_read2_b64 v[44:47], v195 offset0:64 offset1:224
	v_pk_mul_f32 v[34:35], v[42:43], v[0:1] op_sel_hi:[1,0]
	v_mov_b32_e32 v0, v15
	v_pk_fma_f32 v[84:85], v[42:43], v[126:127], v[34:35] op_sel:[0,0,1] op_sel_hi:[1,1,0] neg_lo:[0,0,1] neg_hi:[0,0,1]
	v_pk_fma_f32 v[86:87], v[42:43], v[126:127], v[34:35] op_sel:[0,0,1] op_sel_hi:[1,0,0]
	s_waitcnt lgkmcnt(0)
	v_pk_mul_f32 v[38:39], v[46:47], v[12:13] op_sel_hi:[1,0]
	v_mov_b32_e32 v34, v13
	v_pk_fma_f32 v[34:35], v[46:47], v[34:35], v[38:39] op_sel:[0,0,1] op_sel_hi:[1,1,0]
	v_pk_fma_f32 v[54:55], v[46:47], v[12:13], v[38:39] op_sel:[0,1,1] op_sel_hi:[1,1,0] neg_lo:[1,0,0] neg_hi:[1,0,0]
	ds_read2_b64 v[46:49], v128 offset1:160
	v_pk_mul_f32 v[38:39], v[44:45], v[112:113] op_sel:[0,1]
	v_mov_b32_e32 v85, v87
	v_pk_fma_f32 v[88:89], v[44:45], v[112:113], v[38:39] op_sel:[0,0,1] op_sel_hi:[1,1,0] neg_lo:[0,0,1] neg_hi:[0,0,1]
	v_pk_fma_f32 v[90:91], v[44:45], v[112:113], v[38:39] op_sel:[0,0,1] op_sel_hi:[1,0,0]
	s_waitcnt lgkmcnt(0)
	v_pk_mul_f32 v[38:39], v[48:49], v[0:1] op_sel_hi:[1,0]
	v_mov_b32_e32 v0, v115
	v_pk_fma_f32 v[42:43], v[48:49], v[14:15], v[38:39] op_sel:[0,0,1] op_sel_hi:[1,1,0] neg_lo:[0,0,1] neg_hi:[0,0,1]
	v_pk_fma_f32 v[56:57], v[48:49], v[14:15], v[38:39] op_sel:[0,0,1] op_sel_hi:[1,0,0]
	v_pk_mul_f32 v[38:39], v[46:47], v[0:1] op_sel_hi:[1,0]
	v_pk_mul_f32 v[44:45], v[62:63], v[16:17] op_sel_hi:[1,0]
	v_pk_fma_f32 v[92:93], v[46:47], v[114:115], v[38:39] op_sel:[0,0,1] op_sel_hi:[1,1,0] neg_lo:[0,0,1] neg_hi:[0,0,1]
	v_pk_fma_f32 v[94:95], v[46:47], v[114:115], v[38:39] op_sel:[0,0,1] op_sel_hi:[1,0,0]
	v_mov_b32_e32 v38, v17
	v_pk_fma_f32 v[38:39], v[62:63], v[38:39], v[44:45] op_sel:[0,0,1] op_sel_hi:[1,1,0]
	v_pk_fma_f32 v[58:59], v[62:63], v[16:17], v[44:45] op_sel:[0,1,1] op_sel_hi:[1,1,0] neg_lo:[1,0,0] neg_hi:[1,0,0]
	ds_read2_b64 v[62:65], v233 offset1:160
	v_pk_mul_f32 v[44:45], v[60:61], v[20:21] op_sel:[0,1]
	v_mov_b32_e32 v0, v19
	v_pk_fma_f32 v[96:97], v[60:61], v[20:21], v[44:45] op_sel:[0,0,1] op_sel_hi:[1,1,0] neg_lo:[0,0,1] neg_hi:[0,0,1]
	v_pk_fma_f32 v[98:99], v[60:61], v[20:21], v[44:45] op_sel:[0,0,1] op_sel_hi:[1,0,0]
	s_waitcnt lgkmcnt(0)
	v_pk_mul_f32 v[44:45], v[64:65], v[0:1] op_sel_hi:[1,0]
	v_mov_b32_e32 v0, v23
	v_pk_fma_f32 v[46:47], v[64:65], v[18:19], v[44:45] op_sel:[0,0,1] op_sel_hi:[1,1,0] neg_lo:[0,0,1] neg_hi:[0,0,1]
	v_pk_fma_f32 v[60:61], v[64:65], v[18:19], v[44:45] op_sel:[0,0,1] op_sel_hi:[1,0,0]
	ds_read2_b64 v[64:67], v184 offset0:64 offset1:224
	v_pk_mul_f32 v[44:45], v[62:63], v[0:1] op_sel_hi:[1,0]
	v_mov_b32_e32 v0, v27
	v_pk_fma_f32 v[100:101], v[62:63], v[22:23], v[44:45] op_sel:[0,0,1] op_sel_hi:[1,1,0] neg_lo:[0,0,1] neg_hi:[0,0,1]
	v_pk_fma_f32 v[102:103], v[62:63], v[22:23], v[44:45] op_sel:[0,0,1] op_sel_hi:[1,0,0]
	s_waitcnt lgkmcnt(0)
	v_pk_mul_f32 v[48:49], v[66:67], v[24:25] op_sel_hi:[1,0]
	v_mov_b32_e32 v44, v25
	v_pk_fma_f32 v[44:45], v[66:67], v[44:45], v[48:49] op_sel:[0,0,1] op_sel_hi:[1,1,0]
	v_pk_fma_f32 v[62:63], v[66:67], v[24:25], v[48:49] op_sel:[0,1,1] op_sel_hi:[1,1,0] neg_lo:[1,0,0] neg_hi:[1,0,0]
	v_pk_mul_f32 v[48:49], v[64:65], v[28:29] op_sel:[0,1]
	v_mov_b32_e32 v93, v95
	v_pk_fma_f32 v[104:105], v[64:65], v[28:29], v[48:49] op_sel:[0,0,1] op_sel_hi:[1,1,0] neg_lo:[0,0,1] neg_hi:[0,0,1]
	v_pk_fma_f32 v[106:107], v[64:65], v[28:29], v[48:49] op_sel:[0,0,1] op_sel_hi:[1,0,0]
	v_pk_mul_f32 v[64:65], v[78:79], v[0:1] op_sel_hi:[1,0]
	v_mov_b32_e32 v0, v31
	v_pk_fma_f32 v[48:49], v[78:79], v[26:27], v[64:65] op_sel:[0,0,1] op_sel_hi:[1,1,0] neg_lo:[0,0,1] neg_hi:[0,0,1]
	v_pk_fma_f32 v[66:67], v[78:79], v[26:27], v[64:65] op_sel:[0,0,1] op_sel_hi:[1,0,0]
	ds_read2_b64 v[78:81], v189 offset0:64 offset1:224
	v_pk_mul_f32 v[64:65], v[76:77], v[0:1] op_sel_hi:[1,0]
	v_mov_b32_e32 v101, v103
	v_pk_fma_f32 v[108:109], v[76:77], v[30:31], v[64:65] op_sel:[0,0,1] op_sel_hi:[1,1,0] neg_lo:[0,0,1] neg_hi:[0,0,1]
	v_pk_fma_f32 v[76:77], v[76:77], v[30:31], v[64:65] op_sel:[0,0,1] op_sel_hi:[1,0,0]
	s_waitcnt lgkmcnt(0)
	v_pk_mul_f32 v[110:111], v[80:81], v[164:165] op_sel_hi:[1,0]
	v_mov_b32_e32 v109, v77
	v_pk_fma_f32 v[64:65], v[80:81], v[50:51], v[110:111] op_sel:[0,0,1] op_sel_hi:[1,1,0]
	v_pk_fma_f32 v[80:81], v[80:81], v[164:165], v[110:111] op_sel:[0,1,1] op_sel_hi:[1,1,0] neg_lo:[1,0,0] neg_hi:[1,0,0]
	s_waitcnt vmcnt(0)
	v_pk_mul_f32 v[110:111], v[78:79], v[166:167] op_sel:[0,1]
	v_mov_b32_e32 v73, v83
	v_pk_fma_f32 v[160:161], v[78:79], v[166:167], v[110:111] op_sel:[0,0,1] op_sel_hi:[1,1,0] neg_lo:[0,0,1] neg_hi:[0,0,1]
	v_pk_fma_f32 v[78:79], v[78:79], v[166:167], v[110:111] op_sel:[0,0,1] op_sel_hi:[1,0,0]
	v_pk_add_f32 v[82:83], v[84:85], v[92:93] neg_lo:[0,1] neg_hi:[0,1]
	v_mov_b32_e32 v161, v79
	ds_read2_b64 v[76:79], v192 offset1:160
	v_pk_add_f32 v[86:87], v[108:109], v[100:101] neg_lo:[0,1] neg_hi:[0,1]
	v_mov_b32_e32 v89, v91
	v_pk_add_f32 v[82:83], v[82:83], v[86:87]
	v_pk_add_f32 v[86:87], v[92:93], v[100:101]
	v_pk_add_f32 v[90:91], v[84:85], v[108:109] neg_lo:[0,1] neg_hi:[0,1]
	s_waitcnt lgkmcnt(0)
	v_pk_fma_f32 v[86:87], v[86:87], 0.5, v[76:77] op_sel_hi:[1,0,1] neg_lo:[1,0,0] neg_hi:[1,0,0]
	v_pk_mul_f32 v[94:95], v[90:91], s[6:7] op_sel_hi:[1,0]
	v_mov_b32_e32 v97, v99
	v_pk_add_f32 v[98:99], v[86:87], v[94:95] op_sel:[0,1] op_sel_hi:[1,0]
	v_pk_add_f32 v[86:87], v[86:87], v[94:95] op_sel:[0,1] op_sel_hi:[1,0] neg_lo:[0,1] neg_hi:[0,1]
	v_pk_add_f32 v[94:95], v[92:93], v[100:101] neg_lo:[0,1] neg_hi:[0,1]
	v_mov_b32_e32 v105, v107
	v_pk_mul_f32 v[102:103], v[94:95], s[8:9] op_sel_hi:[1,0]
	v_pk_add_f32 v[106:107], v[160:161], v[104:105] neg_lo:[0,1] neg_hi:[0,1]
	v_pk_add_f32 v[86:87], v[86:87], v[102:103] op_sel:[0,1] op_sel_hi:[1,0] neg_lo:[0,1] neg_hi:[0,1]
	v_pk_add_f32 v[98:99], v[98:99], v[102:103] op_sel:[0,1] op_sel_hi:[1,0]
	v_pk_add_f32 v[102:103], v[88:89], v[96:97] neg_lo:[0,1] neg_hi:[0,1]
	v_pk_add_f32 v[110:111], v[88:89], v[160:161] neg_lo:[0,1] neg_hi:[0,1]
	v_pk_add_f32 v[102:103], v[102:103], v[106:107]
	v_pk_add_f32 v[106:107], v[96:97], v[104:105]
	v_pk_mul_f32 v[162:163], v[110:111], s[6:7] op_sel_hi:[1,0]
	v_pk_fma_f32 v[106:107], v[106:107], 0.5, v[72:73] op_sel_hi:[1,0,1] neg_lo:[1,0,0] neg_hi:[1,0,0]
	v_mul_u32_u24_e32 v0, 0x64, v69
	v_pk_add_f32 v[168:169], v[106:107], v[162:163] op_sel:[0,1] op_sel_hi:[1,0]
	v_pk_add_f32 v[106:107], v[106:107], v[162:163] op_sel:[0,1] op_sel_hi:[1,0] neg_lo:[0,1] neg_hi:[0,1]
	v_pk_add_f32 v[162:163], v[96:97], v[104:105] neg_lo:[0,1] neg_hi:[0,1]
	v_add_lshl_u32 v231, v0, v70, 3
	v_pk_mul_f32 v[170:171], v[162:163], s[8:9] op_sel_hi:[1,0]
	v_pk_add_f32 v[70:71], v[76:77], v[84:85]
	v_pk_add_f32 v[106:107], v[106:107], v[170:171] op_sel:[0,1] op_sel_hi:[1,0] neg_lo:[0,1] neg_hi:[0,1]
	v_pk_add_f32 v[168:169], v[168:169], v[170:171] op_sel:[0,1] op_sel_hi:[1,0]
	v_mov_b32_e32 v171, v107
	v_mov_b32_e32 v170, v168
	v_pk_fma_f32 v[170:171], v[102:103], s[2:3], v[170:171] op_sel_hi:[1,0,1]
	v_pk_add_f32 v[70:71], v[70:71], v[92:93]
	v_pk_mul_f32 v[196:197], v[170:171], s[8:9] op_sel_hi:[1,0]
	v_pk_add_f32 v[70:71], v[70:71], v[100:101]
	v_pk_add_f32 v[92:93], v[92:93], v[84:85] neg_lo:[0,1] neg_hi:[0,1]
	v_pk_add_f32 v[84:85], v[84:85], v[108:109]
	v_pk_add_f32 v[100:101], v[100:101], v[108:109] neg_lo:[0,1] neg_hi:[0,1]
	v_pk_fma_f32 v[198:199], v[170:171], s[12:13], v[196:197] op_sel:[0,0,1] op_sel_hi:[1,0,0]
	v_pk_fma_f32 v[170:171], v[170:171], s[12:13], v[196:197] op_sel:[0,0,1] op_sel_hi:[1,0,0] neg_lo:[0,0,1] neg_hi:[0,0,1]
	v_pk_add_f32 v[92:93], v[92:93], v[100:101]
	v_pk_add_f32 v[100:101], v[88:89], v[160:161]
	v_pk_fma_f32 v[76:77], v[84:85], 0.5, v[76:77] op_sel_hi:[1,0,1] neg_lo:[1,0,0] neg_hi:[1,0,0]
	v_pk_mul_f32 v[84:85], v[94:95], s[6:7] op_sel_hi:[1,0]
	v_mov_b32_e32 v199, v171
	v_pk_add_f32 v[170:171], v[72:73], v[88:89]
	v_pk_fma_f32 v[72:73], v[100:101], 0.5, v[72:73] op_sel_hi:[1,0,1] neg_lo:[1,0,0] neg_hi:[1,0,0]
	v_pk_add_f32 v[94:95], v[76:77], v[84:85] op_sel:[0,1] op_sel_hi:[1,0] neg_lo:[0,1] neg_hi:[0,1]
	v_pk_add_f32 v[76:77], v[76:77], v[84:85] op_sel:[0,1] op_sel_hi:[1,0]
	v_pk_mul_f32 v[84:85], v[90:91], s[8:9] op_sel_hi:[1,0]
	v_pk_mul_f32 v[90:91], v[162:163], s[6:7] op_sel_hi:[1,0]
	v_pk_add_f32 v[76:77], v[76:77], v[84:85] op_sel:[0,1] op_sel_hi:[1,0] neg_lo:[0,1] neg_hi:[0,1]
	v_pk_add_f32 v[84:85], v[94:95], v[84:85] op_sel:[0,1] op_sel_hi:[1,0]
	v_pk_add_f32 v[94:95], v[72:73], v[90:91] op_sel:[0,1] op_sel_hi:[1,0] neg_lo:[0,1] neg_hi:[0,1]
	v_pk_add_f32 v[72:73], v[72:73], v[90:91] op_sel:[0,1] op_sel_hi:[1,0]
	v_pk_mul_f32 v[90:91], v[110:111], s[8:9] op_sel_hi:[1,0]
	v_pk_add_f32 v[170:171], v[170:171], v[96:97]
	v_pk_add_f32 v[88:89], v[96:97], v[88:89] neg_lo:[0,1] neg_hi:[0,1]
	v_pk_add_f32 v[96:97], v[104:105], v[160:161] neg_lo:[0,1] neg_hi:[0,1]
	v_pk_add_f32 v[72:73], v[72:73], v[90:91] op_sel:[0,1] op_sel_hi:[1,0] neg_lo:[0,1] neg_hi:[0,1]
	v_pk_add_f32 v[90:91], v[94:95], v[90:91] op_sel:[0,1] op_sel_hi:[1,0]
	v_pk_add_f32 v[88:89], v[88:89], v[96:97]
	v_mov_b32_e32 v94, v90
	v_mov_b32_e32 v95, v73
	;; [unrolled: 1-line block ×6, first 2 shown]
	v_pk_fma_f32 v[94:95], v[88:89], s[2:3], v[94:95] op_sel_hi:[1,0,1]
	v_mov_b32_e32 v33, v51
	v_mov_b32_e32 v35, v55
	;; [unrolled: 1-line block ×5, first 2 shown]
	v_pk_add_f32 v[50:51], v[36:37], v[42:43] neg_lo:[0,1] neg_hi:[0,1]
	v_pk_add_f32 v[52:53], v[48:49], v[46:47] neg_lo:[0,1] neg_hi:[0,1]
	v_pk_mul_f32 v[96:97], v[94:95], s[6:7] op_sel_hi:[1,0]
	v_mov_b32_e32 v73, v91
	v_pk_add_f32 v[50:51], v[50:51], v[52:53]
	v_pk_add_f32 v[52:53], v[34:35], v[38:39] neg_lo:[0,1] neg_hi:[0,1]
	v_pk_add_f32 v[54:55], v[64:65], v[44:45] neg_lo:[0,1] neg_hi:[0,1]
	v_pk_fma_f32 v[100:101], v[94:95], s[2:3], v[96:97] op_sel:[0,0,1] op_sel_hi:[1,0,0]
	v_pk_fma_f32 v[94:95], v[94:95], s[2:3], v[96:97] op_sel:[0,0,1] op_sel_hi:[1,0,0] neg_lo:[0,0,1] neg_hi:[0,0,1]
	v_pk_fma_f32 v[72:73], v[88:89], s[2:3], v[72:73] op_sel_hi:[1,0,1]
	v_pk_add_f32 v[52:53], v[52:53], v[54:55]
	v_pk_add_f32 v[54:55], v[38:39], v[44:45]
	v_mov_b32_e32 v101, v95
	v_mov_b32_e32 v94, v84
	;; [unrolled: 1-line block ×4, first 2 shown]
	v_pk_mul_f32 v[88:89], v[72:73], s[2:3] op_sel_hi:[1,0]
	v_pk_fma_f32 v[54:55], v[54:55], 0.5, v[32:33] op_sel_hi:[1,0,1] neg_lo:[1,0,0] neg_hi:[1,0,0]
	v_pk_add_f32 v[56:57], v[34:35], v[64:65] neg_lo:[0,1] neg_hi:[0,1]
	v_mov_b32_e32 v196, v98
	v_mov_b32_e32 v197, v87
	v_pk_fma_f32 v[84:85], v[92:93], s[2:3], v[94:95] op_sel_hi:[1,0,1]
	v_pk_fma_f32 v[76:77], v[92:93], s[2:3], v[76:77] op_sel_hi:[1,0,1]
	v_pk_fma_f32 v[72:73], v[72:73], s[16:17], v[88:89] op_sel:[0,0,1] op_sel_hi:[1,1,0] neg_lo:[0,0,1] neg_hi:[0,0,1]
	v_mov_b32_e32 v87, v99
	v_mov_b32_e32 v107, v169
	v_pk_fma_f32 v[58:59], v[56:57], s[6:7], v[54:55] op_sel:[1,0,0] op_sel_hi:[0,0,1]
	v_pk_fma_f32 v[54:55], v[56:57], s[6:7], v[54:55] op_sel:[1,0,0] op_sel_hi:[0,0,1] neg_lo:[1,0,0] neg_hi:[1,0,0]
	v_pk_add_f32 v[60:61], v[38:39], v[44:45] neg_lo:[0,1] neg_hi:[0,1]
	v_pk_fma_f32 v[196:197], v[82:83], s[2:3], v[196:197] op_sel_hi:[1,0,1]
	v_pk_add_f32 v[88:89], v[84:85], v[100:101]
	v_pk_add_f32 v[90:91], v[76:77], v[72:73] op_sel:[0,1] op_sel_hi:[1,0]
	v_pk_fma_f32 v[82:83], v[82:83], s[2:3], v[86:87] op_sel_hi:[1,0,1]
	v_pk_fma_f32 v[86:87], v[102:103], s[2:3], v[106:107] op_sel_hi:[1,0,1]
	v_pk_fma_f32 v[54:55], v[60:61], s[8:9], v[54:55] op_sel:[1,0,0] op_sel_hi:[0,0,1] neg_lo:[1,0,0] neg_hi:[1,0,0]
	v_pk_fma_f32 v[58:59], v[60:61], s[8:9], v[58:59] op_sel:[1,0,0] op_sel_hi:[0,0,1]
	v_pk_add_f32 v[170:171], v[170:171], v[104:105]
	s_barrier
	ds_write2_b64 v231, v[88:89], v[90:91] offset0:20 offset1:30
	v_pk_mul_f32 v[88:89], v[86:87], s[12:13] op_sel_hi:[1,0]
	v_mov_b32_e32 v62, v58
	v_mov_b32_e32 v63, v55
	v_pk_add_f32 v[70:71], v[70:71], v[108:109]
	v_pk_add_f32 v[170:171], v[170:171], v[160:161]
	v_pk_fma_f32 v[86:87], v[86:87], s[18:19], v[88:89] op_sel:[0,0,1] op_sel_hi:[1,1,0] neg_lo:[0,0,1] neg_hi:[0,0,1]
	v_pk_fma_f32 v[62:63], v[52:53], s[2:3], v[62:63] op_sel_hi:[1,0,1]
	v_pk_add_f32 v[200:201], v[70:71], v[170:171]
	v_pk_add_f32 v[70:71], v[70:71], v[170:171] neg_lo:[0,1] neg_hi:[0,1]
	v_pk_add_f32 v[88:89], v[82:83], v[86:87] op_sel:[0,1] op_sel_hi:[1,0]
	v_pk_mul_f32 v[66:67], v[62:63], s[12:13] op_sel_hi:[1,0]
	ds_write2_b64 v231, v[88:89], v[70:71] offset0:40 offset1:50
	v_pk_add_f32 v[70:71], v[196:197], v[198:199] neg_lo:[0,1] neg_hi:[0,1]
	v_pk_add_f32 v[84:85], v[84:85], v[100:101] neg_lo:[0,1] neg_hi:[0,1]
	v_pk_fma_f32 v[62:63], v[62:63], s[24:25], v[66:67] op_sel:[0,0,1] op_sel_hi:[1,1,0] neg_lo:[0,0,1] neg_hi:[0,0,1]
	s_movk_i32 s17, 0x64
	v_pk_add_f32 v[66:67], v[42:43], v[46:47]
	ds_write2_b64 v231, v[70:71], v[84:85] offset0:60 offset1:70
	v_pk_add_f32 v[70:71], v[76:77], v[72:73] op_sel:[0,1] op_sel_hi:[1,0] neg_lo:[0,1] neg_hi:[0,1]
	v_pk_add_f32 v[72:73], v[82:83], v[86:87] op_sel:[0,1] op_sel_hi:[1,0] neg_lo:[0,1] neg_hi:[0,1]
	v_mad_legacy_u16 v0, v41, s17, v68
	v_pk_fma_f32 v[66:67], v[66:67], 0.5, v[78:79] op_sel_hi:[1,0,1] neg_lo:[1,0,0] neg_hi:[1,0,0]
	v_pk_add_f32 v[68:69], v[36:37], v[48:49] neg_lo:[0,1] neg_hi:[0,1]
	v_mov_b32_e32 v55, v59
	ds_write2_b64 v231, v[70:71], v[72:73] offset0:80 offset1:90
	v_pk_fma_f32 v[70:71], v[68:69], s[6:7], v[66:67] op_sel:[1,0,0] op_sel_hi:[0,0,1] neg_lo:[1,0,0] neg_hi:[1,0,0]
	v_pk_fma_f32 v[66:67], v[68:69], s[6:7], v[66:67] op_sel:[1,0,0] op_sel_hi:[0,0,1]
	v_pk_add_f32 v[72:73], v[42:43], v[46:47] neg_lo:[0,1] neg_hi:[0,1]
	v_pk_add_f32 v[80:81], v[78:79], v[36:37]
	v_pk_add_f32 v[82:83], v[32:33], v[34:35]
	v_pk_fma_f32 v[52:53], v[52:53], s[2:3], v[54:55] op_sel_hi:[1,0,1]
	v_pk_fma_f32 v[66:67], v[72:73], s[8:9], v[66:67] op_sel:[1,0,0] op_sel_hi:[0,0,1]
	v_pk_fma_f32 v[70:71], v[72:73], s[8:9], v[70:71] op_sel:[1,0,0] op_sel_hi:[0,0,1] neg_lo:[1,0,0] neg_hi:[1,0,0]
	v_pk_add_f32 v[80:81], v[80:81], v[42:43]
	v_pk_add_f32 v[82:83], v[82:83], v[38:39]
	v_pk_mul_f32 v[54:55], v[52:53], s[8:9] op_sel_hi:[1,0]
	v_mov_b32_e32 v76, v70
	v_mov_b32_e32 v77, v67
	v_pk_add_f32 v[80:81], v[80:81], v[46:47]
	v_pk_add_f32 v[82:83], v[82:83], v[44:45]
	v_mov_b32_e32 v67, v71
	v_pk_fma_f32 v[58:59], v[52:53], s[12:13], v[54:55] op_sel:[0,0,1] op_sel_hi:[1,0,0]
	v_pk_fma_f32 v[52:53], v[52:53], s[12:13], v[54:55] op_sel:[0,0,1] op_sel_hi:[1,0,0] neg_lo:[0,0,1] neg_hi:[0,0,1]
	v_pk_fma_f32 v[76:77], v[50:51], s[2:3], v[76:77] op_sel_hi:[1,0,1]
	v_pk_add_f32 v[80:81], v[80:81], v[48:49]
	v_pk_add_f32 v[82:83], v[82:83], v[64:65]
	v_pk_fma_f32 v[50:51], v[50:51], s[2:3], v[66:67] op_sel_hi:[1,0,1]
	v_mov_b32_e32 v54, v59
	v_mov_b32_e32 v55, v52
	v_pk_add_f32 v[202:203], v[196:197], v[198:199]
	v_lshlrev_b32_e32 v217, 3, v0
	v_pk_add_f32 v[86:87], v[80:81], v[82:83] op_sel:[0,1] op_sel_hi:[1,0] neg_lo:[0,1] neg_hi:[0,1]
	v_pk_add_f32 v[80:81], v[80:81], v[82:83] op_sel:[0,1] op_sel_hi:[1,0]
	v_pk_add_f32 v[52:53], v[50:51], v[54:55]
	ds_write2_b64 v231, v[200:201], v[202:203] offset1:10
	ds_write2_b64 v217, v[80:81], v[52:53] offset1:10
	v_pk_add_f32 v[52:53], v[36:37], v[48:49]
	v_pk_add_f32 v[36:37], v[42:43], v[36:37] neg_lo:[0,1] neg_hi:[0,1]
	v_pk_add_f32 v[42:43], v[46:47], v[48:49] neg_lo:[0,1] neg_hi:[0,1]
	v_pk_add_f32 v[48:49], v[34:35], v[64:65]
	v_pk_add_f32 v[34:35], v[38:39], v[34:35] neg_lo:[0,1] neg_hi:[0,1]
	v_pk_fma_f32 v[32:33], v[48:49], 0.5, v[32:33] op_sel_hi:[1,0,1] neg_lo:[1,0,0] neg_hi:[1,0,0]
	v_pk_add_f32 v[38:39], v[44:45], v[64:65] neg_lo:[0,1] neg_hi:[0,1]
	v_pk_fma_f32 v[52:53], v[52:53], 0.5, v[78:79] op_sel_hi:[1,0,1] neg_lo:[1,0,0] neg_hi:[1,0,0]
	v_pk_add_f32 v[34:35], v[34:35], v[38:39]
	v_pk_fma_f32 v[38:39], v[60:61], s[6:7], v[32:33] op_sel:[1,0,0] op_sel_hi:[0,0,1] neg_lo:[1,0,0] neg_hi:[1,0,0]
	v_pk_fma_f32 v[32:33], v[60:61], s[6:7], v[32:33] op_sel:[1,0,0] op_sel_hi:[0,0,1]
	v_pk_fma_f32 v[32:33], v[56:57], s[8:9], v[32:33] op_sel:[1,0,0] op_sel_hi:[0,0,1] neg_lo:[1,0,0] neg_hi:[1,0,0]
	v_pk_fma_f32 v[38:39], v[56:57], s[8:9], v[38:39] op_sel:[1,0,0] op_sel_hi:[0,0,1]
	v_mov_b32_e32 v44, v38
	v_mov_b32_e32 v45, v33
	;; [unrolled: 1-line block ×3, first 2 shown]
	v_pk_add_f32 v[36:37], v[36:37], v[42:43]
	v_pk_fma_f32 v[42:43], v[72:73], s[6:7], v[52:53] op_sel:[1,0,0] op_sel_hi:[0,0,1]
	v_pk_fma_f32 v[46:47], v[72:73], s[6:7], v[52:53] op_sel:[1,0,0] op_sel_hi:[0,0,1] neg_lo:[1,0,0] neg_hi:[1,0,0]
	v_pk_fma_f32 v[44:45], v[34:35], s[2:3], v[44:45] op_sel_hi:[1,0,1]
	s_mov_b32 s7, s16
	v_pk_fma_f32 v[32:33], v[34:35], s[2:3], v[32:33] op_sel_hi:[1,0,1]
	v_pk_fma_f32 v[46:47], v[68:69], s[8:9], v[46:47] op_sel:[1,0,0] op_sel_hi:[0,0,1]
	v_pk_fma_f32 v[42:43], v[68:69], s[8:9], v[42:43] op_sel:[1,0,0] op_sel_hi:[0,0,1] neg_lo:[1,0,0] neg_hi:[1,0,0]
	v_pk_mul_f32 v[48:49], v[44:45], s[2:3] op_sel_hi:[1,0]
	v_pk_mul_f32 v[34:35], v[32:33], s[6:7] op_sel_hi:[1,0]
	v_pk_fma_f32 v[44:45], v[44:45], s[6:7], v[48:49] op_sel:[0,0,1] op_sel_hi:[1,1,0] neg_lo:[0,0,1] neg_hi:[0,0,1]
	v_mov_b32_e32 v48, v42
	v_mov_b32_e32 v49, v47
	v_mov_b32_e32 v47, v43
	v_pk_fma_f32 v[38:39], v[32:33], s[2:3], v[34:35] op_sel:[0,0,1] op_sel_hi:[1,0,0]
	v_pk_fma_f32 v[32:33], v[32:33], s[2:3], v[34:35] op_sel:[0,0,1] op_sel_hi:[1,0,0] neg_lo:[0,0,1] neg_hi:[0,0,1]
	v_pk_fma_f32 v[42:43], v[36:37], s[2:3], v[48:49] op_sel_hi:[1,0,1]
	v_pk_fma_f32 v[36:37], v[36:37], s[2:3], v[46:47] op_sel_hi:[1,0,1]
	v_mov_b32_e32 v34, v39
	v_mov_b32_e32 v35, v32
	v_add_u16_e32 v0, 0x1e0, v122
	v_pk_add_f32 v[32:33], v[42:43], v[44:45]
	v_pk_add_f32 v[38:39], v[36:37], v[34:35]
	v_lshrrev_b16_e32 v1, 2, v0
	ds_write2_b64 v217, v[38:39], v[32:33] offset0:20 offset1:30
	v_pk_add_f32 v[32:33], v[50:51], v[54:55] neg_lo:[0,1] neg_hi:[0,1]
	v_pk_add_f32 v[34:35], v[36:37], v[34:35] neg_lo:[0,1] neg_hi:[0,1]
	v_mul_u32_u24_e32 v1, 0x147b, v1
	ds_write2_b64 v217, v[32:33], v[34:35] offset0:60 offset1:70
	v_pk_add_f32 v[34:35], v[42:43], v[44:45] neg_lo:[0,1] neg_hi:[0,1]
	v_lshrrev_b32_e32 v42, 17, v1
	v_mul_lo_u16_e32 v1, 0x64, v42
	v_sub_u16_e32 v43, v0, v1
	v_add_u16_e32 v0, 0x280, v122
	v_lshrrev_b16_e32 v1, 2, v0
	v_mul_u32_u24_e32 v1, 0x147b, v1
	v_lshrrev_b32_e32 v7, 17, v1
	v_mul_lo_u16_e32 v1, 0x64, v7
	v_pk_add_f32 v[32:33], v[76:77], v[62:63] neg_lo:[0,1] neg_hi:[0,1]
	v_sub_u16_e32 v41, v0, v1
	ds_write2_b64 v217, v[34:35], v[32:33] offset0:80 offset1:90
	v_mul_lo_u16_e32 v32, 24, v41
	v_mov_b32_e32 v33, v193
	v_pk_add_f32 v[84:85], v[76:77], v[62:63]
	v_lshl_add_u64 v[44:45], s[10:11], 0, v[32:33]
	ds_write2_b64 v217, v[84:85], v[86:87] offset0:40 offset1:50
	s_waitcnt lgkmcnt(0)
	s_barrier
	global_load_dwordx4 v[32:35], v[44:45], off offset:720
	s_mov_b64 s[18:19], 0x140
	v_lshl_add_u64 v[68:69], v[122:123], 0, s[18:19]
	v_mul_lo_u16_e32 v36, 24, v43
	v_mov_b32_e32 v37, v193
	v_lshrrev_b16_e32 v0, 2, v68
	v_lshl_add_u64 v[46:47], s[10:11], 0, v[36:37]
	v_mul_u32_u24_e32 v0, 0x147b, v0
	global_load_dwordx4 v[36:39], v[46:47], off offset:720
	global_load_dwordx2 v[160:161], v[44:45], off offset:736
                                        ; kill: killed $vgpr44_vgpr45
	global_load_dwordx2 v[162:163], v[46:47], off offset:736
	v_lshrrev_b32_e32 v0, 17, v0
	v_mul_lo_u16_e32 v1, 0x64, v0
	v_sub_u16_e32 v1, v68, v1
	v_mul_lo_u16_e32 v44, 24, v1
	v_mov_b32_e32 v45, v193
	v_lshl_add_u64 v[52:53], s[10:11], 0, v[44:45]
	global_load_dwordx4 v[48:51], v[52:53], off offset:720
	v_mul_lo_u16_e32 v44, 24, v3
	v_lshl_add_u64 v[54:55], s[10:11], 0, v[44:45]
	global_load_dwordx4 v[44:47], v[54:55], off offset:720
	global_load_dwordx2 v[168:169], v[52:53], off offset:736
	global_load_dwordx2 v[170:171], v[54:55], off offset:736
	v_cmp_gt_u16_e32 vcc, s17, v122
	s_movk_i32 s7, 0x63
	s_waitcnt vmcnt(7)
	v_mov_b32_e32 v216, v35
	v_cndmask_b32_e32 v4, v4, v122, vcc
	v_mul_hi_i32_i24_e32 v53, 24, v4
	v_mul_i32_i24_e32 v52, 24, v4
	v_lshl_add_u64 v[52:53], s[10:11], 0, v[52:53]
	global_load_dwordx4 v[56:59], v[52:53], off offset:720
	global_load_dwordx2 v[198:199], v[52:53], off offset:736
	ds_read2_b64 v[52:55], v128 offset1:160
	ds_read2_b64 v[60:63], v189 offset0:64 offset1:224
	s_waitcnt vmcnt(8)
	v_mov_b32_e32 v194, v39
	v_cmp_lt_u16_e32 vcc, s7, v122
	s_movk_i32 s7, 0x190
	s_waitcnt lgkmcnt(1)
	v_pk_mul_f32 v[64:65], v[54:55], v[32:33] op_sel_hi:[1,0]
	v_cndmask_b32_e32 v5, 0, v5, vcc
	v_pk_fma_f32 v[66:67], v[54:55], v[32:33], v[64:65] op_sel:[0,1,1] op_sel_hi:[1,1,0]
	v_pk_fma_f32 v[70:71], v[54:55], v[32:33], v[64:65] op_sel:[0,1,1] op_sel_hi:[1,1,0] neg_lo:[1,0,0] neg_hi:[1,0,0]
	v_pk_mul_f32 v[54:55], v[52:53], v[36:37] op_sel_hi:[1,0]
	s_waitcnt vmcnt(5)
	v_mov_b32_e32 v6, v51
	v_pk_fma_f32 v[72:73], v[52:53], v[36:37], v[54:55] op_sel:[0,1,1] op_sel_hi:[1,1,0]
	v_pk_fma_f32 v[76:77], v[52:53], v[36:37], v[54:55] op_sel:[0,1,1] op_sel_hi:[1,1,0] neg_lo:[1,0,0] neg_hi:[1,0,0]
	s_waitcnt lgkmcnt(0)
	v_pk_mul_f32 v[52:53], v[62:63], v[160:161] op_sel_hi:[1,0]
	s_waitcnt vmcnt(4)
	v_mov_b32_e32 v190, v47
	v_pk_fma_f32 v[78:79], v[62:63], v[160:161], v[52:53] op_sel:[0,1,1] op_sel_hi:[1,1,0]
	v_pk_fma_f32 v[80:81], v[62:63], v[160:161], v[52:53] op_sel:[0,1,1] op_sel_hi:[1,1,0] neg_lo:[1,0,0] neg_hi:[1,0,0]
	ds_read2_b64 v[52:55], v233 offset1:160
	v_pk_mul_f32 v[62:63], v[60:61], v[162:163] op_sel_hi:[1,0]
	v_mad_legacy_u16 v2, v2, s7, v3
	v_pk_fma_f32 v[82:83], v[60:61], v[162:163], v[62:63] op_sel:[0,1,1] op_sel_hi:[1,1,0]
	v_pk_fma_f32 v[84:85], v[60:61], v[162:163], v[62:63] op_sel:[0,1,1] op_sel_hi:[1,1,0] neg_lo:[1,0,0] neg_hi:[1,0,0]
	s_waitcnt lgkmcnt(0)
	v_pk_mul_f32 v[60:61], v[54:55], v[194:195] op_sel_hi:[1,0]
	v_lshlrev_b32_e32 v123, 3, v2
	v_pk_fma_f32 v[86:87], v[54:55], v[38:39], v[60:61] op_sel:[0,0,1] op_sel_hi:[1,1,0] neg_lo:[0,0,1] neg_hi:[0,0,1]
	v_pk_fma_f32 v[88:89], v[54:55], v[38:39], v[60:61] op_sel:[0,0,1] op_sel_hi:[1,0,0]
	ds_read2_b64 v[60:63], v195 offset0:64 offset1:224
	v_pk_mul_f32 v[54:55], v[52:53], v[6:7] op_sel_hi:[1,0]
	v_mad_legacy_u16 v0, v0, s7, v1
	v_pk_fma_f32 v[90:91], v[52:53], v[50:51], v[54:55] op_sel:[0,0,1] op_sel_hi:[1,1,0] neg_lo:[0,0,1] neg_hi:[0,0,1]
	v_pk_fma_f32 v[92:93], v[52:53], v[50:51], v[54:55] op_sel:[0,0,1] op_sel_hi:[1,0,0]
	ds_read2_b64 v[52:55], v188 offset1:160
	s_waitcnt lgkmcnt(1)
	v_pk_mul_f32 v[64:65], v[62:63], v[48:49] op_sel_hi:[1,0]
	v_mov_b32_e32 v91, v93
	v_pk_fma_f32 v[94:95], v[62:63], v[48:49], v[64:65] op_sel:[0,1,1] op_sel_hi:[1,1,0]
	v_pk_fma_f32 v[96:97], v[62:63], v[48:49], v[64:65] op_sel:[0,1,1] op_sel_hi:[1,1,0] neg_lo:[1,0,0] neg_hi:[1,0,0]
	v_pk_mul_f32 v[62:63], v[60:61], v[44:45] op_sel_hi:[1,0]
	v_mov_b32_e32 v95, v97
	v_pk_fma_f32 v[98:99], v[60:61], v[44:45], v[62:63] op_sel:[0,1,1] op_sel_hi:[1,1,0]
	v_pk_fma_f32 v[100:101], v[60:61], v[44:45], v[62:63] op_sel:[0,1,1] op_sel_hi:[1,1,0] neg_lo:[1,0,0] neg_hi:[1,0,0]
	s_waitcnt vmcnt(3) lgkmcnt(0)
	v_pk_mul_f32 v[60:61], v[54:55], v[168:169] op_sel_hi:[1,0]
	v_mov_b32_e32 v99, v101
	v_pk_fma_f32 v[102:103], v[54:55], v[168:169], v[60:61] op_sel:[0,1,1] op_sel_hi:[1,1,0]
	v_pk_fma_f32 v[104:105], v[54:55], v[168:169], v[60:61] op_sel:[0,1,1] op_sel_hi:[1,1,0] neg_lo:[1,0,0] neg_hi:[1,0,0]
	ds_read2_b64 v[60:63], v191 offset0:64 offset1:224
	s_waitcnt vmcnt(2)
	v_pk_mul_f32 v[54:55], v[52:53], v[170:171] op_sel_hi:[1,0]
	v_mov_b32_e32 v103, v105
	v_pk_fma_f32 v[106:107], v[52:53], v[170:171], v[54:55] op_sel:[0,1,1] op_sel_hi:[1,1,0]
	v_pk_fma_f32 v[108:109], v[52:53], v[170:171], v[54:55] op_sel:[0,1,1] op_sel_hi:[1,1,0] neg_lo:[1,0,0] neg_hi:[1,0,0]
	s_waitcnt lgkmcnt(0)
	v_pk_mul_f32 v[52:53], v[62:63], v[190:191] op_sel_hi:[1,0]
	v_mov_b32_e32 v107, v109
	v_pk_fma_f32 v[110:111], v[62:63], v[46:47], v[52:53] op_sel:[0,0,1] op_sel_hi:[1,1,0] neg_lo:[0,0,1] neg_hi:[0,0,1]
	v_pk_fma_f32 v[196:197], v[62:63], v[46:47], v[52:53] op_sel:[0,0,1] op_sel_hi:[1,0,0]
	ds_read2_b64 v[52:55], v184 offset0:64 offset1:224
	v_mov_b32_e32 v111, v197
	v_pk_add_f32 v[100:101], v[98:99], v[106:107] neg_lo:[0,1] neg_hi:[0,1]
	v_accvgpr_write_b32 a18, v51
	v_pk_fma_f32 v[98:99], v[98:99], 2.0, v[100:101] op_sel_hi:[1,0,1] neg_lo:[0,0,1] neg_hi:[0,0,1]
	s_waitcnt lgkmcnt(0)
	v_pk_mul_f32 v[202:203], v[52:53], v[216:217] op_sel_hi:[1,0]
	v_lshlrev_b32_e32 v51, 3, v0
	v_pk_fma_f32 v[204:205], v[52:53], v[34:35], v[202:203] op_sel:[0,0,1] op_sel_hi:[1,1,0] neg_lo:[0,0,1] neg_hi:[0,0,1]
	v_pk_fma_f32 v[202:203], v[52:53], v[34:35], v[202:203] op_sel:[0,0,1] op_sel_hi:[1,0,0]
	v_add_lshl_u32 v35, v4, v5, 3
	v_add_u32_e32 v4, 0x400, v35
	v_add_u32_e32 v2, 0x400, v123
	;; [unrolled: 1-line block ×3, first 2 shown]
	v_mov_b32_e32 v87, v89
	v_mov_b32_e32 v73, v77
	v_mov_b32_e32 v83, v85
	v_mad_legacy_u16 v0, v42, s7, v43
	v_mov_b32_e32 v205, v203
	v_mov_b32_e32 v67, v71
	v_mov_b32_e32 v79, v81
	v_mov_b32_e32 v1, 0x640
	v_accvgpr_write_b32 a9, v4
	v_accvgpr_write_b32 a11, v2
	s_waitcnt vmcnt(1)
	v_mov_b32_e32 v6, v59
	v_pk_mul_f32 v[62:63], v[60:61], v[6:7] op_sel_hi:[1,0]
	s_waitcnt vmcnt(0)
	v_pk_mul_f32 v[52:53], v[54:55], v[198:199] op_sel:[0,1]
	v_pk_fma_f32 v[64:65], v[60:61], v[58:59], v[62:63] op_sel:[0,0,1] op_sel_hi:[1,1,0] neg_lo:[0,0,1] neg_hi:[0,0,1]
	v_pk_fma_f32 v[200:201], v[60:61], v[58:59], v[62:63] op_sel:[0,0,1] op_sel_hi:[1,0,0]
	ds_read2_b64 v[60:63], v185 offset1:160
	v_pk_fma_f32 v[206:207], v[54:55], v[198:199], v[52:53] op_sel:[0,0,1] op_sel_hi:[1,1,0] neg_lo:[0,0,1] neg_hi:[0,0,1]
	v_pk_fma_f32 v[210:211], v[54:55], v[198:199], v[52:53] op_sel:[0,0,1] op_sel_hi:[1,0,0]
	ds_read2_b64 v[52:55], v192 offset1:160
	v_mov_b32_e32 v65, v201
	s_waitcnt lgkmcnt(1)
	v_pk_mul_f32 v[212:213], v[62:63], v[56:57] op_sel:[0,1]
	v_mov_b32_e32 v207, v211
	v_pk_fma_f32 v[218:219], v[62:63], v[56:57], v[212:213] op_sel:[0,0,1] op_sel_hi:[1,1,0] neg_lo:[0,0,1] neg_hi:[0,0,1]
	v_pk_fma_f32 v[62:63], v[62:63], v[56:57], v[212:213] op_sel:[0,0,1] op_sel_hi:[1,0,0]
	s_waitcnt lgkmcnt(0)
	v_pk_add_f32 v[200:201], v[52:53], v[64:65] neg_lo:[0,1] neg_hi:[0,1]
	v_mov_b32_e32 v219, v63
	v_pk_add_f32 v[62:63], v[218:219], v[206:207] neg_lo:[0,1] neg_hi:[0,1]
	v_pk_fma_f32 v[52:53], v[52:53], 2.0, v[200:201] op_sel_hi:[1,0,1] neg_lo:[0,0,1] neg_hi:[0,0,1]
	v_pk_fma_f32 v[64:65], v[218:219], 2.0, v[62:63] op_sel_hi:[1,0,1] neg_lo:[0,0,1] neg_hi:[0,0,1]
	v_pk_add_f32 v[206:207], v[200:201], v[62:63] op_sel:[0,1] op_sel_hi:[1,0] neg_lo:[0,1] neg_hi:[0,1]
	v_pk_add_f32 v[62:63], v[200:201], v[62:63] op_sel:[0,1] op_sel_hi:[1,0]
	v_pk_add_f32 v[210:211], v[52:53], v[64:65] neg_lo:[0,1] neg_hi:[0,1]
	v_mov_b32_e32 v207, v63
	v_pk_fma_f32 v[52:53], v[52:53], 2.0, v[210:211] op_sel_hi:[1,0,1] neg_lo:[0,0,1] neg_hi:[0,0,1]
	ds_read2_b64 v[62:65], v209 offset0:64 offset1:224
	v_pk_fma_f32 v[200:201], v[200:201], 2.0, v[206:207] op_sel_hi:[1,0,1] neg_lo:[0,0,1] neg_hi:[0,0,1]
	s_waitcnt lgkmcnt(0)
	s_barrier
	ds_write2_b64 v35, v[52:53], v[200:201] offset1:100
	v_pk_add_f32 v[52:53], v[54:55], v[110:111] neg_lo:[0,1] neg_hi:[0,1]
	ds_write2_b64 v4, v[210:211], v[206:207] offset0:72 offset1:172
	v_pk_add_f32 v[106:107], v[52:53], v[100:101] neg_lo:[0,1] neg_hi:[0,1]
	v_pk_add_f32 v[108:109], v[52:53], v[100:101]
	v_pk_fma_f32 v[54:55], v[54:55], 2.0, v[52:53] op_sel_hi:[1,0,1] neg_lo:[0,0,1] neg_hi:[0,0,1]
	v_mov_b32_e32 v107, v109
	v_pk_add_f32 v[98:99], v[54:55], v[98:99] op_sel:[0,1] op_sel_hi:[1,0] neg_lo:[0,1] neg_hi:[0,1]
	v_pk_fma_f32 v[52:53], v[52:53], 2.0, v[106:107] op_sel_hi:[1,0,1] neg_lo:[0,0,1] neg_hi:[0,0,1]
	v_pk_fma_f32 v[54:55], v[54:55], 2.0, v[98:99] op_sel_hi:[1,0,1] neg_lo:[0,0,1] neg_hi:[0,0,1]
	ds_write2_b64 v123, v[54:55], v[52:53] offset1:100
	v_pk_add_f32 v[52:53], v[62:63], v[90:91] neg_lo:[0,1] neg_hi:[0,1]
	v_pk_add_f32 v[54:55], v[94:95], v[102:103] neg_lo:[0,1] neg_hi:[0,1]
	ds_write2_b64 v2, v[98:99], v[106:107] offset0:72 offset1:172
	v_pk_add_f32 v[90:91], v[52:53], v[54:55] neg_lo:[0,1] neg_hi:[0,1]
	v_pk_add_f32 v[92:93], v[52:53], v[54:55]
	v_pk_fma_f32 v[54:55], v[94:95], 2.0, v[54:55] op_sel_hi:[1,0,1] neg_lo:[0,0,1] neg_hi:[0,0,1]
	v_mov_b32_e32 v91, v93
	v_pk_fma_f32 v[92:93], v[52:53], 2.0, v[90:91] op_sel_hi:[1,0,1] neg_lo:[0,0,1] neg_hi:[0,0,1]
	v_pk_fma_f32 v[52:53], v[62:63], 2.0, v[52:53] op_sel_hi:[1,0,1] neg_lo:[0,0,1] neg_hi:[0,0,1]
	v_accvgpr_write_b32 a20, v59
	v_pk_add_f32 v[54:55], v[52:53], v[54:55] op_sel:[0,1] op_sel_hi:[1,0] neg_lo:[0,1] neg_hi:[0,1]
	ds_write2_b64 v121, v[54:55], v[90:91] offset0:72 offset1:172
	v_pk_fma_f32 v[52:53], v[52:53], 2.0, v[54:55] op_sel_hi:[1,0,1] neg_lo:[0,0,1] neg_hi:[0,0,1]
	ds_write2_b64 v51, v[52:53], v[92:93] offset1:100
	v_pk_add_f32 v[52:53], v[64:65], v[86:87] neg_lo:[0,1] neg_hi:[0,1]
	v_pk_add_f32 v[54:55], v[72:73], v[82:83] neg_lo:[0,1] neg_hi:[0,1]
	v_pk_fma_f32 v[64:65], v[64:65], 2.0, v[52:53] op_sel_hi:[1,0,1] neg_lo:[0,0,1] neg_hi:[0,0,1]
	v_pk_add_f32 v[62:63], v[52:53], v[54:55] neg_lo:[0,1] neg_hi:[0,1]
	v_pk_add_f32 v[76:77], v[52:53], v[54:55]
	v_pk_fma_f32 v[54:55], v[72:73], 2.0, v[54:55] op_sel_hi:[1,0,1] neg_lo:[0,0,1] neg_hi:[0,0,1]
	v_mov_b32_e32 v63, v77
	v_lshlrev_b32_e32 v59, 3, v0
	v_pk_fma_f32 v[42:43], v[52:53], 2.0, v[62:63] op_sel_hi:[1,0,1] neg_lo:[0,0,1] neg_hi:[0,0,1]
	v_pk_add_f32 v[52:53], v[64:65], v[54:55] op_sel:[0,1] op_sel_hi:[1,0] neg_lo:[0,1] neg_hi:[0,1]
	v_add_u32_e32 v0, 0x400, v59
	v_pk_fma_f32 v[54:55], v[64:65], 2.0, v[52:53] op_sel_hi:[1,0,1] neg_lo:[0,0,1] neg_hi:[0,0,1]
	ds_write2_b64 v59, v[54:55], v[42:43] offset1:100
	ds_write2_b64 v0, v[52:53], v[62:63] offset0:72 offset1:172
	v_pk_add_f32 v[42:43], v[60:61], v[204:205] neg_lo:[0,1] neg_hi:[0,1]
	v_pk_add_f32 v[52:53], v[66:67], v[78:79] neg_lo:[0,1] neg_hi:[0,1]
	v_accvgpr_write_b32 a7, v0
	v_pk_add_f32 v[54:55], v[42:43], v[52:53] neg_lo:[0,1] neg_hi:[0,1]
	v_pk_add_f32 v[62:63], v[42:43], v[52:53]
	v_pk_fma_f32 v[60:61], v[60:61], 2.0, v[42:43] op_sel_hi:[1,0,1] neg_lo:[0,0,1] neg_hi:[0,0,1]
	v_mov_b32_e32 v55, v63
	v_pk_fma_f32 v[52:53], v[66:67], 2.0, v[52:53] op_sel_hi:[1,0,1] neg_lo:[0,0,1] neg_hi:[0,0,1]
	v_mad_legacy_u16 v0, v7, s7, v41
	v_lshlrev_b32_e32 v47, 3, v0
	v_pk_fma_f32 v[40:41], v[42:43], 2.0, v[54:55] op_sel_hi:[1,0,1] neg_lo:[0,0,1] neg_hi:[0,0,1]
	v_pk_add_f32 v[42:43], v[60:61], v[52:53] op_sel:[0,1] op_sel_hi:[1,0] neg_lo:[0,1] neg_hi:[0,1]
	v_add_u32_e32 v0, 0x400, v47
	v_pk_fma_f32 v[52:53], v[60:61], 2.0, v[42:43] op_sel_hi:[1,0,1] neg_lo:[0,0,1] neg_hi:[0,0,1]
	v_mad_u64_u32 v[72:73], s[16:17], v122, 24, s[10:11]
	ds_write2_b64 v47, v[52:53], v[40:41] offset1:100
	ds_write2_b64 v0, v[42:43], v[54:55] offset0:72 offset1:172
	s_waitcnt lgkmcnt(0)
	s_barrier
	global_load_dwordx4 v[40:43], v[72:73], off offset:3120
	v_add_co_u32_e32 v60, vcc, s3, v72
	s_mov_b64 s[16:17], 0x22b0
	s_nop 0
	v_addc_co_u32_e32 v61, vcc, 0, v73, vcc
	global_load_dwordx4 v[52:55], v[60:61], off offset:2864
	global_load_dwordx2 v[196:197], v[72:73], off offset:3136
	v_add_co_u32_e32 v62, vcc, s23, v72
	s_movk_i32 s7, 0x50
	s_nop 0
	v_addc_co_u32_e32 v63, vcc, 0, v73, vcc
	global_load_dwordx4 v[64:67], v[62:63], off offset:688
	s_nop 0
	global_load_dwordx4 v[60:63], v[60:61], off offset:944
	v_accvgpr_write_b32 a5, v0
	v_lshl_add_u64 v[70:71], v[72:73], 0, s[16:17]
	s_mov_b64 s[16:17], 0x13b0
	v_add_u32_e32 v0, 0xffffffb0, v122
	v_cmp_gt_u16_e32 vcc, s7, v122
	global_load_dwordx2 v[200:201], v[70:71], off offset:16
	v_lshl_add_u64 v[70:71], v[72:73], 0, s[16:17]
	v_cndmask_b32_e32 v0, v0, v68, vcc
	global_load_dwordx2 v[202:203], v[70:71], off offset:16
	v_mul_hi_i32_i24_e32 v69, 24, v0
	v_mul_i32_i24_e32 v68, 24, v0
	v_lshl_add_u64 v[76:77], s[10:11], 0, v[68:69]
	global_load_dwordx4 v[68:71], v[76:77], off offset:3120
	s_mov_b64 s[16:17], 0x1b30
	v_lshl_add_u64 v[72:73], v[72:73], 0, s[16:17]
	global_load_dwordx2 v[238:239], v[72:73], off offset:16
	global_load_dwordx2 v[236:237], v[76:77], off offset:3136
	ds_read2_b64 v[76:79], v191 offset0:64 offset1:224
	ds_read2_b64 v[80:83], v184 offset0:64 offset1:224
	s_movk_i32 s7, 0x4f
	v_cmp_lt_u16_e32 vcc, s7, v122
	s_mov_b32 s16, 0xbf4f1bbd
	s_mov_b32 s17, s8
	v_cndmask_b32_e32 v1, 0, v1, vcc
	s_waitcnt vmcnt(9)
	v_mov_b32_e32 v208, v43
	s_waitcnt lgkmcnt(1)
	v_pk_mul_f32 v[72:73], v[76:77], v[208:209] op_sel_hi:[1,0]
	s_waitcnt vmcnt(8)
	v_mov_b32_e32 v214, v55
	v_pk_fma_f32 v[84:85], v[76:77], v[42:43], v[72:73] op_sel:[0,0,1] op_sel_hi:[1,1,0] neg_lo:[0,0,1] neg_hi:[0,0,1]
	v_pk_fma_f32 v[72:73], v[76:77], v[42:43], v[72:73] op_sel:[0,0,1] op_sel_hi:[1,0,0]
	v_pk_mul_f32 v[76:77], v[78:79], v[214:215] op_sel_hi:[1,0]
	v_mov_b32_e32 v85, v73
	v_pk_fma_f32 v[86:87], v[78:79], v[54:55], v[76:77] op_sel:[0,0,1] op_sel_hi:[1,1,0] neg_lo:[0,0,1] neg_hi:[0,0,1]
	v_pk_fma_f32 v[88:89], v[78:79], v[54:55], v[76:77] op_sel:[0,0,1] op_sel_hi:[1,0,0]
	s_waitcnt vmcnt(7) lgkmcnt(0)
	v_pk_mul_f32 v[76:77], v[82:83], v[196:197] op_sel:[0,1]
	s_waitcnt vmcnt(6)
	v_mov_b32_e32 v234, v67
	v_pk_fma_f32 v[90:91], v[82:83], v[196:197], v[76:77] op_sel:[0,0,1] op_sel_hi:[1,1,0] neg_lo:[0,0,1] neg_hi:[0,0,1]
	v_pk_fma_f32 v[92:93], v[82:83], v[196:197], v[76:77] op_sel:[0,0,1] op_sel_hi:[1,0,0]
	ds_read2_b64 v[76:79], v128 offset1:160
	v_pk_mul_f32 v[82:83], v[80:81], v[234:235] op_sel_hi:[1,0]
	s_waitcnt vmcnt(5)
	v_mov_b32_e32 v232, v63
	v_pk_fma_f32 v[94:95], v[80:81], v[66:67], v[82:83] op_sel:[0,0,1] op_sel_hi:[1,1,0] neg_lo:[0,0,1] neg_hi:[0,0,1]
	v_pk_fma_f32 v[96:97], v[80:81], v[66:67], v[82:83] op_sel:[0,0,1] op_sel_hi:[1,0,0]
	s_waitcnt lgkmcnt(0)
	v_pk_mul_f32 v[98:99], v[78:79], v[64:65] op_sel_hi:[1,0]
	ds_read2_b64 v[80:83], v189 offset0:64 offset1:224
	v_pk_fma_f32 v[100:101], v[78:79], v[64:65], v[98:99] op_sel:[0,1,1] op_sel_hi:[1,1,0]
	v_pk_fma_f32 v[98:99], v[78:79], v[64:65], v[98:99] op_sel:[0,1,1] op_sel_hi:[1,1,0] neg_lo:[1,0,0] neg_hi:[1,0,0]
	v_pk_mul_f32 v[78:79], v[76:77], v[60:61] op_sel_hi:[1,0]
	s_waitcnt vmcnt(2)
	v_mov_b32_e32 v230, v71
	v_pk_fma_f32 v[102:103], v[76:77], v[60:61], v[78:79] op_sel:[0,1,1] op_sel_hi:[1,1,0]
	v_pk_fma_f32 v[104:105], v[76:77], v[60:61], v[78:79] op_sel:[0,1,1] op_sel_hi:[1,1,0] neg_lo:[1,0,0] neg_hi:[1,0,0]
	ds_read2_b64 v[76:79], v195 offset0:64 offset1:224
	s_waitcnt lgkmcnt(1)
	v_pk_mul_f32 v[106:107], v[82:83], v[200:201] op_sel_hi:[1,0]
	v_mov_b32_e32 v91, v93
	v_pk_fma_f32 v[108:109], v[82:83], v[200:201], v[106:107] op_sel:[0,1,1] op_sel_hi:[1,1,0]
	v_pk_fma_f32 v[82:83], v[82:83], v[200:201], v[106:107] op_sel:[0,1,1] op_sel_hi:[1,1,0] neg_lo:[1,0,0] neg_hi:[1,0,0]
	v_pk_mul_f32 v[106:107], v[80:81], v[202:203] op_sel_hi:[1,0]
	v_mov_b32_e32 v87, v89
	v_pk_fma_f32 v[110:111], v[80:81], v[202:203], v[106:107] op_sel:[0,1,1] op_sel_hi:[1,1,0]
	v_pk_fma_f32 v[106:107], v[80:81], v[202:203], v[106:107] op_sel:[0,1,1] op_sel_hi:[1,1,0] neg_lo:[1,0,0] neg_hi:[1,0,0]
	s_waitcnt lgkmcnt(0)
	v_pk_mul_f32 v[80:81], v[76:77], v[52:53] op_sel:[0,1]
	v_mov_b32_e32 v95, v97
	v_pk_fma_f32 v[204:205], v[76:77], v[52:53], v[80:81] op_sel:[0,0,1] op_sel_hi:[1,1,0] neg_lo:[0,0,1] neg_hi:[0,0,1]
	v_pk_fma_f32 v[80:81], v[76:77], v[52:53], v[80:81] op_sel:[0,0,1] op_sel_hi:[1,0,0]
	v_pk_mul_f32 v[76:77], v[78:79], v[68:69] op_sel:[0,1]
	v_mov_b32_e32 v205, v81
	v_pk_fma_f32 v[206:207], v[78:79], v[68:69], v[76:77] op_sel:[0,0,1] op_sel_hi:[1,1,0] neg_lo:[0,0,1] neg_hi:[0,0,1]
	v_pk_fma_f32 v[210:211], v[78:79], v[68:69], v[76:77] op_sel:[0,0,1] op_sel_hi:[1,0,0]
	ds_read2_b64 v[76:79], v233 offset1:160
	v_mov_b32_e32 v207, v211
	v_mov_b32_e32 v101, v99
	;; [unrolled: 1-line block ×4, first 2 shown]
	s_waitcnt lgkmcnt(0)
	v_pk_mul_f32 v[212:213], v[78:79], v[232:233] op_sel_hi:[1,0]
	v_mov_b32_e32 v111, v107
	v_pk_fma_f32 v[218:219], v[78:79], v[62:63], v[212:213] op_sel:[0,0,1] op_sel_hi:[1,1,0] neg_lo:[0,0,1] neg_hi:[0,0,1]
	v_pk_fma_f32 v[212:213], v[78:79], v[62:63], v[212:213] op_sel:[0,0,1] op_sel_hi:[1,0,0]
	v_pk_mul_f32 v[78:79], v[76:77], v[230:231] op_sel_hi:[1,0]
	v_mov_b32_e32 v219, v213
	v_pk_fma_f32 v[220:221], v[76:77], v[70:71], v[78:79] op_sel:[0,0,1] op_sel_hi:[1,1,0] neg_lo:[0,0,1] neg_hi:[0,0,1]
	v_pk_fma_f32 v[222:223], v[76:77], v[70:71], v[78:79] op_sel:[0,0,1] op_sel_hi:[1,0,0]
	ds_read2_b64 v[76:79], v188 offset1:160
	v_mov_b32_e32 v221, v223
	v_add_lshl_u32 v63, v0, v1, 3
	v_add_u32_e32 v67, 0x4000, v192
	v_add_u32_e32 v0, 0x3400, v192
	s_waitcnt vmcnt(1) lgkmcnt(0)
	v_pk_mul_f32 v[224:225], v[76:77], v[238:239] op_sel:[0,1]
	v_add_u32_e32 v71, 0x4c00, v192
	v_pk_fma_f32 v[226:227], v[76:77], v[238:239], v[224:225] op_sel:[0,0,1] op_sel_hi:[1,1,0] neg_lo:[0,0,1] neg_hi:[0,0,1]
	v_pk_fma_f32 v[224:225], v[76:77], v[238:239], v[224:225] op_sel:[0,0,1] op_sel_hi:[1,0,0]
	s_waitcnt vmcnt(0)
	v_pk_mul_f32 v[76:77], v[78:79], v[236:237] op_sel:[0,1]
	v_mov_b32_e32 v227, v225
	v_pk_fma_f32 v[228:229], v[78:79], v[236:237], v[76:77] op_sel:[0,0,1] op_sel_hi:[1,1,0] neg_lo:[0,0,1] neg_hi:[0,0,1]
	v_pk_fma_f32 v[244:245], v[78:79], v[236:237], v[76:77] op_sel:[0,0,1] op_sel_hi:[1,0,0]
	ds_read2_b64 v[76:79], v185 offset1:160
	v_mov_b32_e32 v229, v245
	v_add_u32_e32 v43, 0x4a00, v192
	v_add_u32_e32 v55, 0x5400, v192
	v_accvgpr_write_b32 a13, v0
	s_waitcnt lgkmcnt(0)
	v_pk_mul_f32 v[246:247], v[78:79], v[40:41] op_sel:[0,1]
	v_pk_add_f32 v[82:83], v[76:77], v[94:95] neg_lo:[0,1] neg_hi:[0,1]
	v_pk_fma_f32 v[248:249], v[78:79], v[40:41], v[246:247] op_sel:[0,0,1] op_sel_hi:[1,1,0] neg_lo:[0,0,1] neg_hi:[0,0,1]
	v_pk_fma_f32 v[78:79], v[78:79], v[40:41], v[246:247] op_sel:[0,0,1] op_sel_hi:[1,0,0]
	v_pk_add_f32 v[94:95], v[102:103], v[110:111] neg_lo:[0,1] neg_hi:[0,1]
	v_mov_b32_e32 v249, v79
	ds_read2_b64 v[78:81], v192 offset1:160
	v_pk_fma_f32 v[76:77], v[76:77], 2.0, v[82:83] op_sel_hi:[1,0,1] neg_lo:[0,0,1] neg_hi:[0,0,1]
	s_waitcnt lgkmcnt(0)
	v_pk_add_f32 v[72:73], v[78:79], v[84:85] neg_lo:[0,1] neg_hi:[0,1]
	v_pk_add_f32 v[84:85], v[80:81], v[86:87] neg_lo:[0,1] neg_hi:[0,1]
	v_pk_fma_f32 v[86:87], v[78:79], 2.0, v[72:73] op_sel_hi:[1,0,1] neg_lo:[0,0,1] neg_hi:[0,0,1]
	v_pk_add_f32 v[78:79], v[248:249], v[90:91] neg_lo:[0,1] neg_hi:[0,1]
	v_pk_fma_f32 v[88:89], v[80:81], 2.0, v[84:85] op_sel_hi:[1,0,1] neg_lo:[0,0,1] neg_hi:[0,0,1]
	v_pk_fma_f32 v[90:91], v[248:249], 2.0, v[78:79] op_sel_hi:[1,0,1] neg_lo:[0,0,1] neg_hi:[0,0,1]
	v_pk_add_f32 v[92:93], v[72:73], v[78:79] op_sel:[0,1] op_sel_hi:[1,0] neg_lo:[0,1] neg_hi:[0,1]
	v_pk_add_f32 v[78:79], v[72:73], v[78:79] op_sel:[0,1] op_sel_hi:[1,0]
	s_nop 0
	v_mov_b32_e32 v93, v79
	v_pk_fma_f32 v[72:73], v[72:73], 2.0, v[92:93] op_sel_hi:[1,0,1] neg_lo:[0,0,1] neg_hi:[0,0,1]
	ds_read2_b64 v[78:81], v209 offset0:64 offset1:224
	s_waitcnt lgkmcnt(0)
	s_barrier
	ds_write_b64 v192, v[72:73] offset:3200
	v_pk_add_f32 v[72:73], v[86:87], v[90:91] neg_lo:[0,1] neg_hi:[0,1]
	ds_write_b64 v192, v[72:73] offset:6400
	ds_write_b64 v192, v[92:93] offset:9600
	v_pk_fma_f32 v[86:87], v[86:87], 2.0, v[72:73] op_sel_hi:[1,0,1] neg_lo:[0,0,1] neg_hi:[0,0,1]
	v_pk_add_f32 v[72:73], v[204:205], v[226:227] neg_lo:[0,1] neg_hi:[0,1]
	s_nop 0
	v_pk_fma_f32 v[90:91], v[204:205], 2.0, v[72:73] op_sel_hi:[1,0,1] neg_lo:[0,0,1] neg_hi:[0,0,1]
	s_nop 0
	v_pk_add_f32 v[90:91], v[88:89], v[90:91] neg_lo:[0,1] neg_hi:[0,1]
	s_nop 0
	v_pk_fma_f32 v[88:89], v[88:89], 2.0, v[90:91] op_sel_hi:[1,0,1] neg_lo:[0,0,1] neg_hi:[0,0,1]
	ds_write2_b64 v192, v[86:87], v[88:89] offset1:160
	ds_write_b64 v192, v[90:91] offset:7680
	v_pk_add_f32 v[90:91], v[84:85], v[72:73] op_sel:[0,1] op_sel_hi:[1,0] neg_lo:[0,1] neg_hi:[0,1]
	v_pk_add_f32 v[72:73], v[84:85], v[72:73] op_sel:[0,1] op_sel_hi:[1,0]
	v_pk_add_f32 v[86:87], v[100:101], v[108:109] neg_lo:[0,1] neg_hi:[0,1]
	v_mov_b32_e32 v91, v73
	v_pk_fma_f32 v[72:73], v[84:85], 2.0, v[90:91] op_sel_hi:[1,0,1] neg_lo:[0,0,1] neg_hi:[0,0,1]
	ds_write_b64 v192, v[72:73] offset:4480
	ds_write_b64 v192, v[90:91] offset:10880
	v_pk_add_f32 v[72:73], v[78:79], v[220:221] neg_lo:[0,1] neg_hi:[0,1]
	v_pk_add_f32 v[84:85], v[206:207], v[228:229] neg_lo:[0,1] neg_hi:[0,1]
	v_pk_fma_f32 v[78:79], v[78:79], 2.0, v[72:73] op_sel_hi:[1,0,1] neg_lo:[0,0,1] neg_hi:[0,0,1]
	v_pk_fma_f32 v[90:91], v[206:207], 2.0, v[84:85] op_sel_hi:[1,0,1] neg_lo:[0,0,1] neg_hi:[0,0,1]
	v_pk_add_f32 v[88:89], v[82:83], v[86:87] neg_lo:[0,1] neg_hi:[0,1]
	v_pk_add_f32 v[90:91], v[78:79], v[90:91] neg_lo:[0,1] neg_hi:[0,1]
	v_pk_add_f32 v[92:93], v[82:83], v[86:87]
	v_pk_fma_f32 v[78:79], v[78:79], 2.0, v[90:91] op_sel_hi:[1,0,1] neg_lo:[0,0,1] neg_hi:[0,0,1]
	v_mov_b32_e32 v89, v93
	v_pk_add_f32 v[92:93], v[80:81], v[218:219] neg_lo:[0,1] neg_hi:[0,1]
	ds_write_b64 v63, v[78:79]
	v_pk_add_f32 v[78:79], v[72:73], v[84:85] op_sel:[0,1] op_sel_hi:[1,0] neg_lo:[0,1] neg_hi:[0,1]
	v_pk_add_f32 v[84:85], v[72:73], v[84:85] op_sel:[0,1] op_sel_hi:[1,0]
	v_pk_add_f32 v[96:97], v[92:93], v[94:95] neg_lo:[0,1] neg_hi:[0,1]
	v_pk_add_f32 v[98:99], v[92:93], v[94:95]
	v_mov_b32_e32 v79, v85
	v_mov_b32_e32 v97, v99
	v_pk_fma_f32 v[72:73], v[72:73], 2.0, v[78:79] op_sel_hi:[1,0,1] neg_lo:[0,0,1] neg_hi:[0,0,1]
	ds_write_b64 v63, v[72:73] offset:3200
	ds_write_b64 v63, v[90:91] offset:6400
	;; [unrolled: 1-line block ×3, first 2 shown]
	v_pk_fma_f32 v[72:73], v[80:81], 2.0, v[92:93] op_sel_hi:[1,0,1] neg_lo:[0,0,1] neg_hi:[0,0,1]
	v_pk_fma_f32 v[78:79], v[92:93], 2.0, v[96:97] op_sel_hi:[1,0,1] neg_lo:[0,0,1] neg_hi:[0,0,1]
	;; [unrolled: 1-line block ×3, first 2 shown]
	ds_write2_b64 v67, v[78:79], v[80:81] offset0:32 offset1:192
	v_pk_fma_f32 v[78:79], v[102:103], 2.0, v[94:95] op_sel_hi:[1,0,1] neg_lo:[0,0,1] neg_hi:[0,0,1]
	v_pk_fma_f32 v[80:81], v[100:101], 2.0, v[86:87] op_sel_hi:[1,0,1] neg_lo:[0,0,1] neg_hi:[0,0,1]
	v_pk_add_f32 v[78:79], v[72:73], v[78:79] op_sel:[0,1] op_sel_hi:[1,0] neg_lo:[0,1] neg_hi:[0,1]
	v_pk_add_f32 v[80:81], v[76:77], v[80:81] op_sel:[0,1] op_sel_hi:[1,0] neg_lo:[0,1] neg_hi:[0,1]
	v_pk_fma_f32 v[72:73], v[72:73], 2.0, v[78:79] op_sel_hi:[1,0,1] neg_lo:[0,0,1] neg_hi:[0,0,1]
	v_pk_fma_f32 v[76:77], v[76:77], 2.0, v[80:81] op_sel_hi:[1,0,1] neg_lo:[0,0,1] neg_hi:[0,0,1]
	ds_write2_b64 v0, v[72:73], v[76:77] offset0:16 offset1:176
	v_lshl_add_u64 v[72:73], s[10:11], 0, v[192:193]
	v_add_co_u32_e32 v76, vcc, s20, v72
	ds_write2_b64 v71, v[78:79], v[80:81] offset0:48 offset1:208
	ds_write2_b64 v189, v[96:97], v[88:89] offset0:64 offset1:224
	v_addc_co_u32_e32 v77, vcc, 0, v73, vcc
	s_waitcnt lgkmcnt(0)
	s_barrier
	global_load_dwordx2 v[220:221], v[76:77], off offset:432
	global_load_dwordx2 v[218:219], v[76:77], off offset:1712
	global_load_dwordx2 v[210:211], v[76:77], off offset:2992
	v_add_co_u32_e32 v76, vcc, s21, v72
	s_mov_b32 s10, s2
	s_nop 0
	v_addc_co_u32_e32 v77, vcc, 0, v73, vcc
	global_load_dwordx2 v[212:213], v[76:77], off offset:176
	global_load_dwordx2 v[226:227], v[76:77], off offset:1456
	;; [unrolled: 1-line block ×4, first 2 shown]
	ds_read2_b64 v[76:79], v191 offset0:64 offset1:224
	ds_read2_b64 v[80:83], v233 offset1:160
	v_add_co_u32_e32 v72, vcc, s22, v72
	s_mov_b32 s11, s6
	s_nop 0
	v_addc_co_u32_e32 v73, vcc, 0, v73, vcc
	global_load_dwordx2 v[206:207], v[72:73], off offset:1200
	s_waitcnt vmcnt(7) lgkmcnt(1)
	v_pk_mul_f32 v[84:85], v[76:77], v[220:221] op_sel:[0,1]
	s_nop 0
	v_pk_fma_f32 v[86:87], v[76:77], v[220:221], v[84:85] op_sel:[0,0,1] op_sel_hi:[1,1,0] neg_lo:[0,0,1] neg_hi:[0,0,1]
	v_pk_fma_f32 v[84:85], v[76:77], v[220:221], v[84:85] op_sel:[0,0,1] op_sel_hi:[1,0,0]
	s_waitcnt vmcnt(6)
	v_pk_mul_f32 v[76:77], v[78:79], v[218:219] op_sel:[0,1]
	v_mov_b32_e32 v87, v85
	v_pk_fma_f32 v[88:89], v[78:79], v[218:219], v[76:77] op_sel:[0,0,1] op_sel_hi:[1,1,0] neg_lo:[0,0,1] neg_hi:[0,0,1]
	v_pk_fma_f32 v[90:91], v[78:79], v[218:219], v[76:77] op_sel:[0,0,1] op_sel_hi:[1,0,0]
	s_waitcnt vmcnt(5) lgkmcnt(0)
	v_pk_mul_f32 v[76:77], v[80:81], v[210:211] op_sel:[0,1]
	v_mov_b32_e32 v89, v91
	v_pk_fma_f32 v[92:93], v[80:81], v[210:211], v[76:77] op_sel:[0,0,1] op_sel_hi:[1,1,0] neg_lo:[0,0,1] neg_hi:[0,0,1]
	v_pk_fma_f32 v[94:95], v[80:81], v[210:211], v[76:77] op_sel:[0,0,1] op_sel_hi:[1,0,0]
	s_waitcnt vmcnt(4)
	v_pk_mul_f32 v[76:77], v[82:83], v[212:213] op_sel:[0,1]
	v_mov_b32_e32 v93, v95
	v_pk_fma_f32 v[96:97], v[82:83], v[212:213], v[76:77] op_sel:[0,0,1] op_sel_hi:[1,1,0] neg_lo:[0,0,1] neg_hi:[0,0,1]
	v_pk_fma_f32 v[98:99], v[82:83], v[212:213], v[76:77] op_sel:[0,0,1] op_sel_hi:[1,0,0]
	ds_read2_b64 v[76:79], v184 offset0:64 offset1:224
	v_mov_b32_e32 v97, v99
	s_waitcnt vmcnt(3) lgkmcnt(0)
	v_pk_mul_f32 v[80:81], v[76:77], v[226:227] op_sel:[0,1]
	s_nop 0
	v_pk_fma_f32 v[100:101], v[76:77], v[226:227], v[80:81] op_sel:[0,0,1] op_sel_hi:[1,1,0] neg_lo:[0,0,1] neg_hi:[0,0,1]
	v_pk_fma_f32 v[102:103], v[76:77], v[226:227], v[80:81] op_sel:[0,0,1] op_sel_hi:[1,0,0]
	s_waitcnt vmcnt(2)
	v_pk_mul_f32 v[76:77], v[78:79], v[222:223] op_sel:[0,1]
	v_mov_b32_e32 v101, v103
	v_pk_fma_f32 v[104:105], v[78:79], v[222:223], v[76:77] op_sel:[0,0,1] op_sel_hi:[1,1,0] neg_lo:[0,0,1] neg_hi:[0,0,1]
	v_pk_fma_f32 v[106:107], v[78:79], v[222:223], v[76:77] op_sel:[0,0,1] op_sel_hi:[1,0,0]
	ds_read2_b64 v[76:79], v192 offset1:160
	v_mov_b32_e32 v105, v107
	s_waitcnt lgkmcnt(0)
	v_pk_add_f32 v[108:109], v[76:77], v[86:87] neg_lo:[0,1] neg_hi:[0,1]
	v_pk_add_f32 v[110:111], v[78:79], v[88:89] neg_lo:[0,1] neg_hi:[0,1]
	v_pk_fma_f32 v[224:225], v[76:77], 2.0, v[108:109] op_sel_hi:[1,0,1] neg_lo:[0,0,1] neg_hi:[0,0,1]
	v_pk_fma_f32 v[228:229], v[78:79], 2.0, v[110:111] op_sel_hi:[1,0,1] neg_lo:[0,0,1] neg_hi:[0,0,1]
	ds_read2_b64 v[76:79], v209 offset0:64 offset1:224
	ds_read2_b64 v[80:83], v185 offset1:160
	ds_read2_b64 v[84:87], v195 offset0:64 offset1:224
	ds_read2_b64 v[88:91], v188 offset1:160
	ds_write2_b64 v192, v[224:225], v[228:229] offset1:160
	s_waitcnt lgkmcnt(4)
	v_pk_add_f32 v[92:93], v[76:77], v[92:93] neg_lo:[0,1] neg_hi:[0,1]
	v_pk_add_f32 v[94:95], v[78:79], v[96:97] neg_lo:[0,1] neg_hi:[0,1]
	v_pk_fma_f32 v[76:77], v[76:77], 2.0, v[92:93] op_sel_hi:[1,0,1] neg_lo:[0,0,1] neg_hi:[0,0,1]
	v_pk_fma_f32 v[78:79], v[78:79], 2.0, v[94:95] op_sel_hi:[1,0,1] neg_lo:[0,0,1] neg_hi:[0,0,1]
	ds_write2_b64 v209, v[76:77], v[78:79] offset0:64 offset1:224
	global_load_dwordx2 v[228:229], v[72:73], off offset:2480
	global_load_dwordx2 v[224:225], v[72:73], off offset:3760
	s_waitcnt vmcnt(3) lgkmcnt(2)
	v_pk_mul_f32 v[76:77], v[88:89], v[204:205] op_sel:[0,1]
	ds_write2_b64 v191, v[108:109], v[110:111] offset0:64 offset1:224
	v_pk_fma_f32 v[96:97], v[88:89], v[204:205], v[76:77] op_sel:[0,0,1] op_sel_hi:[1,1,0] neg_lo:[0,0,1] neg_hi:[0,0,1]
	v_pk_fma_f32 v[88:89], v[88:89], v[204:205], v[76:77] op_sel:[0,0,1] op_sel_hi:[1,0,0]
	s_waitcnt vmcnt(2)
	v_pk_mul_f32 v[76:77], v[90:91], v[206:207] op_sel:[0,1]
	v_mov_b32_e32 v97, v89
	v_pk_fma_f32 v[98:99], v[90:91], v[206:207], v[76:77] op_sel:[0,0,1] op_sel_hi:[1,1,0] neg_lo:[0,0,1] neg_hi:[0,0,1]
	v_pk_fma_f32 v[90:91], v[90:91], v[206:207], v[76:77] op_sel:[0,0,1] op_sel_hi:[1,0,0]
	ds_read2_b64 v[76:79], v189 offset0:64 offset1:224
	v_mov_b32_e32 v99, v91
	s_waitcnt vmcnt(1) lgkmcnt(0)
	v_pk_mul_f32 v[72:73], v[76:77], v[228:229] op_sel:[0,1]
	s_nop 0
	v_pk_fma_f32 v[244:245], v[76:77], v[228:229], v[72:73] op_sel:[0,0,1] op_sel_hi:[1,1,0] neg_lo:[0,0,1] neg_hi:[0,0,1]
	v_pk_fma_f32 v[72:73], v[76:77], v[228:229], v[72:73] op_sel:[0,0,1] op_sel_hi:[1,0,0]
	s_waitcnt vmcnt(0)
	v_pk_mul_f32 v[76:77], v[78:79], v[224:225] op_sel:[0,1]
	v_mov_b32_e32 v245, v73
	v_pk_fma_f32 v[246:247], v[78:79], v[224:225], v[76:77] op_sel:[0,0,1] op_sel_hi:[1,1,0] neg_lo:[0,0,1] neg_hi:[0,0,1]
	v_pk_fma_f32 v[248:249], v[78:79], v[224:225], v[76:77] op_sel:[0,0,1] op_sel_hi:[1,0,0]
	ds_read2_b64 v[76:79], v128 offset1:160
	ds_write2_b64 v233, v[92:93], v[94:95] offset1:160
	v_pk_add_f32 v[92:93], v[80:81], v[100:101] neg_lo:[0,1] neg_hi:[0,1]
	v_pk_add_f32 v[94:95], v[82:83], v[104:105] neg_lo:[0,1] neg_hi:[0,1]
	v_pk_fma_f32 v[80:81], v[80:81], 2.0, v[92:93] op_sel_hi:[1,0,1] neg_lo:[0,0,1] neg_hi:[0,0,1]
	v_pk_fma_f32 v[82:83], v[82:83], 2.0, v[94:95] op_sel_hi:[1,0,1] neg_lo:[0,0,1] neg_hi:[0,0,1]
	ds_write_b64 v192, v[92:93] offset:17920
	ds_write2_b64 v185, v[80:81], v[82:83] offset1:160
	v_pk_add_f32 v[80:81], v[84:85], v[96:97] neg_lo:[0,1] neg_hi:[0,1]
	v_pk_add_f32 v[82:83], v[86:87], v[98:99] neg_lo:[0,1] neg_hi:[0,1]
	ds_write2_b64 v43, v[94:95], v[80:81] offset0:32 offset1:192
	v_pk_fma_f32 v[80:81], v[84:85], 2.0, v[80:81] op_sel_hi:[1,0,1] neg_lo:[0,0,1] neg_hi:[0,0,1]
	v_pk_fma_f32 v[84:85], v[86:87], 2.0, v[82:83] op_sel_hi:[1,0,1] neg_lo:[0,0,1] neg_hi:[0,0,1]
	v_mov_b32_e32 v247, v249
	s_waitcnt lgkmcnt(4)
	v_pk_add_f32 v[72:73], v[76:77], v[244:245] neg_lo:[0,1] neg_hi:[0,1]
	ds_write2_b64 v195, v[80:81], v[84:85] offset0:64 offset1:224
	ds_write2_b64 v55, v[82:83], v[72:73] offset0:32 offset1:192
	v_pk_fma_f32 v[72:73], v[76:77], 2.0, v[72:73] op_sel_hi:[1,0,1] neg_lo:[0,0,1] neg_hi:[0,0,1]
	v_pk_add_f32 v[76:77], v[78:79], v[246:247] neg_lo:[0,1] neg_hi:[0,1]
	s_nop 0
	v_pk_fma_f32 v[78:79], v[78:79], 2.0, v[76:77] op_sel_hi:[1,0,1] neg_lo:[0,0,1] neg_hi:[0,0,1]
	ds_write2_b64 v128, v[72:73], v[78:79] offset1:160
	ds_write_b64 v192, v[76:77] offset:24320
	s_waitcnt lgkmcnt(0)
	s_barrier
	global_load_dwordx2 v[72:73], v192, s[14:15]
	global_load_dwordx2 v[84:85], v192, s[14:15] offset:1280
	global_load_dwordx2 v[86:87], v192, s[14:15] offset:2560
	;; [unrolled: 1-line block ×3, first 2 shown]
	ds_read2_b64 v[76:79], v192 offset1:160
	s_waitcnt vmcnt(3) lgkmcnt(0)
	v_mul_f32_e32 v0, v77, v73
	v_mul_f32_e32 v81, v76, v73
	v_fma_f32 v80, v76, v72, -v0
	v_fmac_f32_e32 v81, v77, v72
	ds_write_b64 v192, v[80:81]
	ds_read2_b64 v[80:83], v209 offset0:64 offset1:224
	s_waitcnt vmcnt(2)
	v_mul_f32_e32 v0, v79, v85
	v_fma_f32 v90, v78, v84, -v0
	v_mul_f32_e32 v91, v78, v85
	v_fmac_f32_e32 v91, v79, v84
	s_waitcnt vmcnt(1) lgkmcnt(0)
	v_mul_f32_e32 v0, v81, v87
	v_fma_f32 v84, v80, v86, -v0
	v_mul_f32_e32 v85, v80, v87
	s_waitcnt vmcnt(0)
	v_mul_f32_e32 v0, v83, v89
	v_lshl_add_u64 v[72:73], s[14:15], 0, v[192:193]
	v_fmac_f32_e32 v85, v81, v86
	v_fma_f32 v80, v82, v88, -v0
	v_mul_f32_e32 v81, v82, v89
	v_add_co_u32_e32 v82, vcc, s3, v72
	v_fmac_f32_e32 v81, v83, v88
	s_nop 0
	v_addc_co_u32_e32 v83, vcc, 0, v73, vcc
	global_load_dwordx2 v[86:87], v[82:83], off offset:1024
	ds_read2_b64 v[76:79], v185 offset1:160
	s_waitcnt vmcnt(0) lgkmcnt(0)
	v_mul_f32_e32 v0, v77, v87
	v_mul_f32_e32 v89, v76, v87
	v_fma_f32 v88, v76, v86, -v0
	v_fmac_f32_e32 v89, v77, v86
	global_load_dwordx2 v[76:77], v[82:83], off offset:2304
	s_waitcnt vmcnt(0)
	v_mul_f32_e32 v0, v79, v77
	global_load_dwordx2 v[82:83], v[82:83], off offset:3584
	v_mul_f32_e32 v87, v78, v77
	v_fma_f32 v86, v78, v76, -v0
	v_fmac_f32_e32 v87, v79, v76
	v_add_co_u32_e32 v76, vcc, s20, v72
	s_nop 1
	v_addc_co_u32_e32 v77, vcc, 0, v73, vcc
	global_load_dwordx2 v[92:93], v[76:77], off offset:512
	global_load_dwordx2 v[94:95], v[76:77], off offset:1792
	;; [unrolled: 1-line block ×3, first 2 shown]
	ds_read2_b64 v[76:79], v195 offset0:64 offset1:224
	s_waitcnt vmcnt(3) lgkmcnt(0)
	v_mul_f32_e32 v0, v77, v83
	v_mul_f32_e32 v99, v76, v83
	v_fma_f32 v98, v76, v82, -v0
	v_fmac_f32_e32 v99, v77, v82
	v_add_co_u32_e32 v82, vcc, s22, v72
	s_nop 1
	v_addc_co_u32_e32 v83, vcc, 0, v73, vcc
	v_add_co_u32_e32 v76, vcc, s23, v72
	s_nop 1
	v_addc_co_u32_e32 v77, vcc, 0, v73, vcc
	global_load_dwordx2 v[100:101], v[76:77], off offset:768
	global_load_dwordx2 v[102:103], v[76:77], off offset:3328
	;; [unrolled: 1-line block ×3, first 2 shown]
	v_add_co_u32_e32 v72, vcc, s21, v72
	s_waitcnt vmcnt(2)
	v_mul_f32_e32 v0, v79, v101
	v_mul_f32_e32 v107, v78, v101
	v_fma_f32 v106, v78, v100, -v0
	v_fmac_f32_e32 v107, v79, v100
	global_load_dwordx2 v[100:101], v74, s[14:15]
	ds_read2_b64 v[76:79], v128 offset1:160
	v_addc_co_u32_e32 v73, vcc, 0, v73, vcc
	s_waitcnt vmcnt(0) lgkmcnt(0)
	v_mul_f32_e32 v0, v77, v101
	v_fma_f32 v108, v76, v100, -v0
	v_mul_f32_e32 v109, v76, v101
	v_mul_f32_e32 v0, v79, v103
	;; [unrolled: 1-line block ×3, first 2 shown]
	v_fmac_f32_e32 v109, v77, v100
	v_fma_f32 v100, v78, v102, -v0
	v_fmac_f32_e32 v101, v79, v102
	ds_read2_b64 v[76:79], v191 offset0:64 offset1:224
	s_waitcnt lgkmcnt(0)
	v_mul_f32_e32 v0, v77, v93
	v_fma_f32 v102, v76, v92, -v0
	v_mul_f32_e32 v103, v76, v93
	v_mul_f32_e32 v0, v79, v95
	v_mul_f32_e32 v93, v78, v95
	v_fmac_f32_e32 v103, v77, v92
	v_fma_f32 v92, v78, v94, -v0
	v_fmac_f32_e32 v93, v79, v94
	ds_read2_b64 v[76:79], v233 offset1:160
	s_waitcnt lgkmcnt(0)
	v_mul_f32_e32 v0, v77, v97
	v_mul_f32_e32 v95, v76, v97
	v_fma_f32 v94, v76, v96, -v0
	v_fmac_f32_e32 v95, v77, v96
	global_load_dwordx2 v[76:77], v[72:73], off offset:256
	global_load_dwordx2 v[96:97], v[82:83], off offset:1280
	;; [unrolled: 1-line block ×3, first 2 shown]
	s_waitcnt vmcnt(2)
	v_mul_f32_e32 v0, v79, v77
	global_load_dwordx2 v[72:73], v[72:73], off offset:2816
	v_mul_f32_e32 v245, v78, v77
	global_load_dwordx2 v[82:83], v[82:83], off offset:2560
	v_fma_f32 v244, v78, v76, -v0
	v_fmac_f32_e32 v245, v79, v76
	ds_read2_b64 v[76:79], v184 offset0:64 offset1:224
	s_waitcnt vmcnt(2) lgkmcnt(0)
	v_mul_f32_e32 v0, v77, v111
	v_mul_f32_e32 v247, v76, v111
	v_fma_f32 v246, v76, v110, -v0
	v_fmac_f32_e32 v247, v77, v110
	s_waitcnt vmcnt(1)
	v_mul_f32_e32 v0, v79, v73
	v_mul_f32_e32 v77, v78, v73
	v_fma_f32 v76, v78, v72, -v0
	v_fmac_f32_e32 v77, v79, v72
	global_load_dwordx2 v[78:79], v75, s[14:15]
	ds_read2_b64 v[72:75], v188 offset1:160
	s_mov_b32 s14, 0xbe9e377a
	s_mov_b32 s15, s6
	s_waitcnt vmcnt(0) lgkmcnt(0)
	v_mul_f32_e32 v0, v73, v79
	v_fma_f32 v110, v72, v78, -v0
	v_mul_f32_e32 v111, v72, v79
	v_mul_f32_e32 v0, v75, v97
	;; [unrolled: 1-line block ×3, first 2 shown]
	v_fmac_f32_e32 v111, v73, v78
	v_fma_f32 v78, v74, v96, -v0
	v_fmac_f32_e32 v79, v75, v96
	ds_read2_b64 v[72:75], v189 offset0:64 offset1:224
	s_waitcnt lgkmcnt(0)
	v_mul_f32_e32 v0, v73, v83
	v_fma_f32 v96, v72, v82, -v0
	v_mul_f32_e32 v0, v75, v105
	v_mul_f32_e32 v97, v72, v83
	v_fma_f32 v72, v74, v104, -v0
	v_add_u32_e32 v0, 0x400, v192
	ds_write2_b64 v0, v[90:91], v[84:85] offset0:32 offset1:192
	v_add_u32_e32 v0, 0xe00, v192
	ds_write2_b64 v0, v[80:81], v[88:89] offset0:32 offset1:192
	;; [unrolled: 2-line block ×3, first 2 shown]
	v_add_u32_e32 v0, 0x2200, v192
	v_fmac_f32_e32 v97, v73, v82
	v_mul_f32_e32 v73, v74, v105
	ds_write2_b64 v0, v[106:107], v[108:109] offset0:32 offset1:192
	v_add_u32_e32 v0, 0x2c00, v192
	v_fmac_f32_e32 v73, v75, v104
	ds_write2_b64 v0, v[100:101], v[102:103] offset0:32 offset1:192
	v_add_u32_e32 v0, 0x3600, v192
	ds_write2_b64 v0, v[92:93], v[94:95] offset0:32 offset1:192
	ds_write2_b64 v67, v[244:245], v[246:247] offset0:32 offset1:192
	;; [unrolled: 1-line block ×4, first 2 shown]
	ds_write_b64 v192, v[72:73] offset:24320
	s_waitcnt lgkmcnt(0)
	s_barrier
	ds_read2_b64 v[72:75], v185 offset1:160
	ds_read2_b64 v[76:79], v128 offset1:160
	;; [unrolled: 1-line block ×4, first 2 shown]
	s_waitcnt lgkmcnt(2)
	v_pk_add_f32 v[80:81], v[72:73], v[76:77] neg_lo:[0,1] neg_hi:[0,1]
	s_waitcnt lgkmcnt(1)
	v_pk_add_f32 v[92:93], v[76:77], v[84:85]
	s_waitcnt lgkmcnt(0)
	v_pk_add_f32 v[82:83], v[88:89], v[84:85] neg_lo:[0,1] neg_hi:[0,1]
	v_pk_add_f32 v[250:251], v[72:73], v[88:89] neg_lo:[0,1] neg_hi:[0,1]
	v_pk_add_f32 v[248:249], v[80:81], v[82:83]
	ds_read2_b64 v[80:83], v192 offset1:160
	v_pk_mul_f32 v[94:95], v[250:251], s[6:7] op_sel_hi:[1,0]
	v_pk_add_f32 v[252:253], v[76:77], v[84:85] neg_lo:[0,1] neg_hi:[0,1]
	s_waitcnt lgkmcnt(0)
	v_pk_fma_f32 v[92:93], v[92:93], 0.5, v[80:81] op_sel_hi:[1,0,1] neg_lo:[1,0,0] neg_hi:[1,0,0]
	s_nop 0
	v_pk_add_f32 v[96:97], v[92:93], v[94:95] op_sel:[0,1] op_sel_hi:[1,0] neg_lo:[0,1] neg_hi:[0,1]
	v_pk_add_f32 v[92:93], v[92:93], v[94:95] op_sel:[0,1] op_sel_hi:[1,0]
	v_pk_mul_f32 v[94:95], v[252:253], s[8:9] op_sel_hi:[1,0]
	s_nop 0
	v_pk_add_f32 v[254:255], v[92:93], v[94:95] op_sel:[0,1] op_sel_hi:[1,0]
	v_pk_add_f32 v[4:5], v[96:97], v[94:95] op_sel:[0,1] op_sel_hi:[1,0] neg_lo:[0,1] neg_hi:[0,1]
	ds_read2_b64 v[96:99], v195 offset0:64 offset1:224
	ds_read2_b64 v[92:95], v191 offset0:64 offset1:224
	;; [unrolled: 1-line block ×4, first 2 shown]
	v_mov_b32_e32 v6, v4
	v_mov_b32_e32 v7, v255
	v_pk_fma_f32 v[6:7], v[248:249], s[2:3], v[6:7] op_sel_hi:[1,0,1]
	s_waitcnt lgkmcnt(2)
	v_pk_add_f32 v[104:105], v[96:97], v[92:93] neg_lo:[0,1] neg_hi:[0,1]
	s_waitcnt lgkmcnt(0)
	v_pk_add_f32 v[106:107], v[100:101], v[108:109] neg_lo:[0,1] neg_hi:[0,1]
	v_pk_add_f32 v[244:245], v[92:93], v[108:109]
	v_pk_add_f32 v[0:1], v[104:105], v[106:107]
	ds_read2_b64 v[104:107], v209 offset0:64 offset1:224
	v_pk_add_f32 v[116:117], v[96:97], v[100:101] neg_lo:[0,1] neg_hi:[0,1]
	v_pk_add_f32 v[240:241], v[92:93], v[108:109] neg_lo:[0,1] neg_hi:[0,1]
	v_pk_mul_f32 v[246:247], v[116:117], s[6:7] op_sel_hi:[1,0]
	s_waitcnt lgkmcnt(0)
	v_pk_fma_f32 v[244:245], v[244:245], 0.5, v[104:105] op_sel_hi:[1,0,1] neg_lo:[1,0,0] neg_hi:[1,0,0]
	s_barrier
	v_pk_add_f32 v[242:243], v[244:245], v[246:247] op_sel:[0,1] op_sel_hi:[1,0]
	v_pk_add_f32 v[244:245], v[244:245], v[246:247] op_sel:[0,1] op_sel_hi:[1,0] neg_lo:[0,1] neg_hi:[0,1]
	v_pk_mul_f32 v[246:247], v[240:241], s[8:9] op_sel_hi:[1,0]
	s_nop 0
	v_pk_add_f32 v[242:243], v[246:247], v[242:243] op_sel:[1,0] op_sel_hi:[0,1]
	v_pk_add_f32 v[2:3], v[244:245], v[246:247] op_sel:[0,1] op_sel_hi:[1,0] neg_lo:[0,1] neg_hi:[0,1]
	v_pk_fma_f32 v[8:9], v[0:1], s[2:3], v[242:243] op_sel_hi:[1,0,1]
	s_mov_b32 s3, s8
	v_mov_b32_e32 v242, v2
	v_pk_fma_f32 v[242:243], v[0:1], s[2:3], v[242:243] op_sel_hi:[1,0,1]
	v_pk_fma_f32 v[0:1], v[0:1], s[2:3], v[2:3] op_sel_hi:[1,0,1]
	v_pk_mul_f32 v[244:245], v[242:243], s[8:9] op_sel_hi:[1,0]
	v_mov_b32_e32 v255, v5
	v_pk_fma_f32 v[176:177], v[242:243], s[12:13], v[244:245] op_sel:[0,0,1] op_sel_hi:[1,0,0] neg_lo:[0,0,1] neg_hi:[0,0,1]
	v_pk_fma_f32 v[242:243], v[242:243], s[12:13], v[244:245] op_sel:[0,0,1] op_sel_hi:[1,0,0]
	v_pk_add_f32 v[244:245], v[104:105], v[96:97]
	v_mov_b32_e32 v177, v243
	v_pk_add_f32 v[242:243], v[80:81], v[72:73]
	v_pk_add_f32 v[244:245], v[244:245], v[92:93]
	;; [unrolled: 1-line block ×9, first 2 shown]
	ds_write_b128 v215, v[244:247]
	v_mov_b32_e32 v244, v92
	v_mov_b32_e32 v245, v108
	;; [unrolled: 1-line block ×4, first 2 shown]
	v_pk_add_f32 v[244:245], v[244:245], v[246:247] neg_lo:[0,1] neg_hi:[0,1]
	v_mov_b32_e32 v92, v93
	v_mov_b32_e32 v93, v109
	;; [unrolled: 1-line block ×5, first 2 shown]
	v_pk_add_f32 v[92:93], v[92:93], v[108:109] neg_lo:[0,1] neg_hi:[0,1]
	v_pk_add_f32 v[244:245], v[244:245], v[4:5]
	v_mov_b32_e32 v4, v93
	v_pk_add_f32 v[76:77], v[76:77], v[72:73] neg_lo:[0,1] neg_hi:[0,1]
	v_pk_add_f32 v[72:73], v[72:73], v[88:89]
	v_pk_add_f32 v[92:93], v[92:93], v[4:5]
	;; [unrolled: 1-line block ×3, first 2 shown]
	v_pk_add_f32 v[84:85], v[84:85], v[88:89] neg_lo:[0,1] neg_hi:[0,1]
	v_pk_fma_f32 v[72:73], v[72:73], 0.5, v[80:81] op_sel_hi:[1,0,1] neg_lo:[1,0,0] neg_hi:[1,0,0]
	v_pk_mul_f32 v[80:81], v[252:253], s[6:7] op_sel_hi:[1,0]
	v_mov_b32_e32 v245, v117
	v_mov_b32_e32 v93, v116
	v_fma_f32 v11, -0.5, v96, v104
	v_fma_f32 v100, -0.5, v97, v105
	v_pk_add_f32 v[76:77], v[76:77], v[84:85]
	v_pk_add_f32 v[84:85], v[72:73], v[80:81] op_sel:[0,1] op_sel_hi:[1,0]
	v_pk_add_f32 v[72:73], v[72:73], v[80:81] op_sel:[0,1] op_sel_hi:[1,0] neg_lo:[0,1] neg_hi:[0,1]
	v_pk_mul_f32 v[80:81], v[250:251], s[8:9] op_sel_hi:[1,0]
	v_fmamk_f32 v4, v241, 0x3f737871, v11
	v_fmamk_f32 v96, v240, 0xbf737871, v100
	v_pk_add_f32 v[72:73], v[72:73], v[80:81] op_sel:[0,1] op_sel_hi:[1,0]
	v_pk_add_f32 v[80:81], v[84:85], v[80:81] op_sel:[0,1] op_sel_hi:[1,0] neg_lo:[0,1] neg_hi:[0,1]
	v_pk_mul_f32 v[84:85], v[244:245], s[2:3]
	v_pk_mul_f32 v[88:89], v[92:93], s[2:3]
	v_sub_f32_e32 v97, v4, v85
	v_add_f32_e32 v4, v89, v96
	s_mov_b32 s7, s2
	v_add_f32_e32 v4, v88, v4
	v_fmac_f32_e32 v11, 0xbf737871, v241
	v_fmac_f32_e32 v100, 0x3f737871, v240
	v_pk_mul_f32 v[92:93], v[4:5], s[6:7] op_sel_hi:[0,1]
	v_add_f32_e32 v4, v84, v97
	v_pk_fma_f32 v[96:97], v[4:5], s[10:11], v[92:93] neg_lo:[0,0,1] neg_hi:[0,0,1]
	v_pk_fma_f32 v[92:93], v[4:5], s[10:11], v[92:93] op_sel_hi:[0,1,1]
	v_add_f32_e32 v4, v85, v11
	v_sub_f32_e32 v11, v100, v89
	v_add_f32_e32 v4, v84, v4
	v_add_f32_e32 v84, v88, v11
	v_pk_mul_f32 v[84:85], v[84:85], s[6:7] op_sel_hi:[0,1]
	v_mov_b32_e32 v88, v80
	v_mov_b32_e32 v89, v73
	;; [unrolled: 1-line block ×4, first 2 shown]
	v_pk_fma_f32 v[84:85], v[4:5], s[14:15], v[84:85] op_sel_hi:[0,1,1] neg_lo:[0,0,1] neg_hi:[0,0,1]
	v_pk_fma_f32 v[80:81], v[76:77], s[2:3], v[88:89] op_sel_hi:[1,0,1]
	v_pk_fma_f32 v[72:73], v[76:77], s[2:3], v[72:73] op_sel_hi:[1,0,1]
	v_pk_mul_f32 v[0:1], v[0:1], s[8:9] op_sel:[1,0]
	v_pk_add_f32 v[244:245], v[80:81], v[96:97]
	v_pk_add_f32 v[246:247], v[72:73], v[84:85]
	v_pk_fma_f32 v[2:3], v[248:249], s[2:3], v[254:255] op_sel_hi:[1,0,1]
	v_pk_fma_f32 v[0:1], v[8:9], s[16:17], v[0:1] op_sel_hi:[0,1,1] neg_lo:[0,0,1] neg_hi:[0,0,1]
	ds_write_b128 v215, v[244:247] offset:16
	v_pk_add_f32 v[246:247], v[242:243], v[186:187] neg_lo:[0,1] neg_hi:[0,1]
	v_pk_add_f32 v[244:245], v[2:3], v[0:1]
	ds_write_b128 v215, v[244:247] offset:32
	v_pk_add_f32 v[244:245], v[6:7], v[176:177] neg_lo:[0,1] neg_hi:[0,1]
	v_pk_add_f32 v[246:247], v[80:81], v[96:97] neg_lo:[0,1] neg_hi:[0,1]
	ds_write_b128 v215, v[244:247] offset:48
	v_pk_add_f32 v[246:247], v[2:3], v[0:1] neg_lo:[0,1] neg_hi:[0,1]
	v_pk_add_f32 v[0:1], v[82:83], v[74:75]
	v_pk_add_f32 v[244:245], v[72:73], v[84:85] neg_lo:[0,1] neg_hi:[0,1]
	v_pk_add_f32 v[0:1], v[0:1], v[78:79]
	v_pk_add_f32 v[2:3], v[78:79], v[86:87]
	v_pk_add_f32 v[4:5], v[78:79], v[86:87] neg_lo:[0,1] neg_hi:[0,1]
	v_pk_add_f32 v[6:7], v[74:75], v[78:79] neg_lo:[0,1] neg_hi:[0,1]
	;; [unrolled: 1-line block ×3, first 2 shown]
	v_pk_add_f32 v[0:1], v[0:1], v[86:87]
	v_pk_add_f32 v[72:73], v[90:91], v[86:87] neg_lo:[0,1] neg_hi:[0,1]
	v_pk_add_f32 v[80:81], v[86:87], v[90:91] neg_lo:[0,1] neg_hi:[0,1]
	v_pk_add_f32 v[86:87], v[106:107], v[98:99]
	v_pk_add_f32 v[8:9], v[78:79], v[74:75] neg_lo:[0,1] neg_hi:[0,1]
	v_pk_add_f32 v[78:79], v[74:75], v[90:91]
	v_pk_add_f32 v[74:75], v[98:99], v[102:103]
	;; [unrolled: 1-line block ×5, first 2 shown]
	v_pk_fma_f32 v[2:3], v[2:3], 0.5, v[82:83] op_sel_hi:[1,0,1] neg_lo:[1,0,0] neg_hi:[1,0,0]
	v_pk_mul_f32 v[72:73], v[76:77], s[6:7] op_sel_hi:[1,0]
	v_pk_add_f32 v[0:1], v[0:1], v[90:91]
	v_mov_b32_e32 v84, v98
	v_pk_add_f32 v[90:91], v[98:99], v[102:103] neg_lo:[0,1] neg_hi:[0,1]
	v_pk_add_f32 v[92:93], v[98:99], v[94:95] neg_lo:[0,1] neg_hi:[0,1]
	v_mov_b32_e32 v96, v94
	v_mov_b32_e32 v98, v95
	v_pk_add_f32 v[94:95], v[94:95], v[110:111] neg_lo:[0,1] neg_hi:[0,1]
	v_mov_b32_e32 v97, v110
	v_pk_add_f32 v[86:87], v[86:87], v[110:111]
	v_pk_add_f32 v[104:105], v[102:103], v[110:111] neg_lo:[0,1] neg_hi:[0,1]
	v_fma_f32 v11, -0.5, v74, v106
	v_fma_f32 v110, -0.5, v75, v107
	v_pk_fma_f32 v[74:75], v[100:101], 0.5, v[106:107] op_sel_hi:[1,0,1] neg_lo:[1,0,0] neg_hi:[1,0,0]
	v_pk_add_f32 v[100:101], v[2:3], v[72:73] op_sel:[0,1] op_sel_hi:[1,0] neg_lo:[0,1] neg_hi:[0,1]
	v_pk_add_f32 v[2:3], v[2:3], v[72:73] op_sel:[0,1] op_sel_hi:[1,0]
	v_pk_mul_f32 v[72:73], v[4:5], s[8:9] op_sel_hi:[1,0]
	v_mov_b32_e32 v85, v102
	v_pk_add_f32 v[2:3], v[2:3], v[72:73] op_sel:[0,1] op_sel_hi:[1,0]
	v_pk_add_f32 v[100:101], v[100:101], v[72:73] op_sel:[0,1] op_sel_hi:[1,0] neg_lo:[0,1] neg_hi:[0,1]
	v_pk_mul_f32 v[72:73], v[90:91], s[6:7] op_sel_hi:[1,0]
	v_pk_add_f32 v[86:87], v[86:87], v[102:103]
	v_mov_b32_e32 v89, v103
	v_pk_add_f32 v[102:103], v[74:75], v[72:73] op_sel:[0,1] op_sel_hi:[1,0]
	v_pk_add_f32 v[72:73], v[74:75], v[72:73] op_sel:[0,1] op_sel_hi:[1,0] neg_lo:[0,1] neg_hi:[0,1]
	v_pk_mul_f32 v[74:75], v[94:95], s[8:9] op_sel_hi:[1,0]
	v_pk_add_f32 v[92:93], v[92:93], v[104:105]
	v_pk_add_f32 v[102:103], v[74:75], v[102:103] op_sel:[1,0] op_sel_hi:[0,1]
	v_pk_add_f32 v[104:105], v[72:73], v[74:75] op_sel:[0,1] op_sel_hi:[1,0] neg_lo:[0,1] neg_hi:[0,1]
	v_pk_fma_f32 v[106:107], v[92:93], s[2:3], v[102:103] op_sel_hi:[1,0,1]
	v_mov_b32_e32 v102, v104
	v_pk_fma_f32 v[72:73], v[92:93], s[2:3], v[102:103] op_sel_hi:[1,0,1]
	ds_write_b128 v215, v[244:247] offset:64
	v_pk_mul_f32 v[74:75], v[72:73], s[8:9] op_sel_hi:[1,0]
	v_mov_b32_e32 v88, v99
	v_pk_fma_f32 v[102:103], v[72:73], s[12:13], v[74:75] op_sel:[0,0,1] op_sel_hi:[1,0,0] neg_lo:[0,0,1] neg_hi:[0,0,1]
	v_pk_fma_f32 v[72:73], v[72:73], s[12:13], v[74:75] op_sel:[0,0,1] op_sel_hi:[1,0,0]
	v_mov_b32_e32 v99, v111
	v_mov_b32_e32 v103, v73
	;; [unrolled: 1-line block ×4, first 2 shown]
	v_pk_fma_f32 v[108:109], v[6:7], s[2:3], v[72:73] op_sel_hi:[1,0,1]
	v_pk_add_f32 v[72:73], v[0:1], v[86:87]
	v_pk_add_f32 v[74:75], v[108:109], v[102:103]
	ds_write_b128 v235, v[72:75]
	v_pk_add_f32 v[74:75], v[96:97], v[84:85] neg_lo:[0,1] neg_hi:[0,1]
	v_pk_fma_f32 v[72:73], v[78:79], 0.5, v[82:83] op_sel_hi:[1,0,1] neg_lo:[1,0,0] neg_hi:[1,0,0]
	v_mov_b32_e32 v78, v75
	v_pk_add_f32 v[74:75], v[74:75], v[78:79]
	v_pk_add_f32 v[78:79], v[98:99], v[88:89] neg_lo:[0,1] neg_hi:[0,1]
	v_mov_b32_e32 v75, v91
	v_mov_b32_e32 v82, v79
	v_pk_add_f32 v[78:79], v[78:79], v[82:83]
	v_fmamk_f32 v3, v95, 0x3f737871, v11
	v_pk_mul_f32 v[4:5], v[4:5], s[6:7] op_sel_hi:[1,0]
	v_pk_mul_f32 v[74:75], v[74:75], s[2:3]
	v_mov_b32_e32 v79, v90
	v_fmac_f32_e32 v11, 0xbf737871, v95
	v_pk_add_f32 v[8:9], v[8:9], v[80:81]
	v_pk_add_f32 v[80:81], v[72:73], v[4:5] op_sel:[0,1] op_sel_hi:[1,0]
	v_pk_add_f32 v[4:5], v[72:73], v[4:5] op_sel:[0,1] op_sel_hi:[1,0] neg_lo:[0,1] neg_hi:[0,1]
	v_pk_mul_f32 v[72:73], v[76:77], s[8:9] op_sel_hi:[1,0]
	v_sub_f32_e32 v3, v3, v75
	v_fmamk_f32 v82, v94, 0xbf737871, v110
	v_fmac_f32_e32 v110, 0x3f737871, v94
	v_pk_add_f32 v[4:5], v[4:5], v[72:73] op_sel:[0,1] op_sel_hi:[1,0]
	v_pk_add_f32 v[72:73], v[80:81], v[72:73] op_sel:[0,1] op_sel_hi:[1,0] neg_lo:[0,1] neg_hi:[0,1]
	v_pk_mul_f32 v[76:77], v[78:79], s[2:3]
	v_add_f32_e32 v80, v74, v3
	v_add_f32_e32 v3, v75, v11
	;; [unrolled: 1-line block ×4, first 2 shown]
	v_sub_f32_e32 v3, v110, v77
	v_add_f32_e32 v78, v76, v78
	v_add_f32_e32 v76, v76, v3
	v_pk_mul_f32 v[78:79], v[78:79], s[6:7] op_sel_hi:[0,1]
	v_pk_mul_f32 v[76:77], v[76:77], s[6:7] op_sel_hi:[0,1]
	v_pk_fma_f32 v[82:83], v[80:81], s[10:11], v[78:79] neg_lo:[0,0,1] neg_hi:[0,0,1]
	v_pk_fma_f32 v[78:79], v[80:81], s[10:11], v[78:79] op_sel_hi:[0,1,1]
	v_pk_fma_f32 v[76:77], v[74:75], s[14:15], v[76:77] op_sel_hi:[0,1,1] neg_lo:[0,0,1] neg_hi:[0,0,1]
	v_mov_b32_e32 v74, v72
	v_mov_b32_e32 v75, v5
	;; [unrolled: 1-line block ×4, first 2 shown]
	v_pk_fma_f32 v[78:79], v[8:9], s[2:3], v[74:75] op_sel_hi:[1,0,1]
	v_pk_fma_f32 v[4:5], v[8:9], s[2:3], v[4:5] op_sel_hi:[1,0,1]
	;; [unrolled: 1-line block ×3, first 2 shown]
	v_mov_b32_e32 v3, v101
	v_pk_fma_f32 v[2:3], v[6:7], s[2:3], v[2:3] op_sel_hi:[1,0,1]
	v_pk_mul_f32 v[6:7], v[8:9], s[8:9] op_sel:[1,0]
	v_pk_add_f32 v[72:73], v[78:79], v[82:83]
	v_pk_add_f32 v[74:75], v[4:5], v[76:77]
	v_pk_fma_f32 v[6:7], v[106:107], s[16:17], v[6:7] op_sel_hi:[0,1,1] neg_lo:[0,0,1] neg_hi:[0,0,1]
	ds_write_b128 v235, v[72:75] offset:16
	v_pk_add_f32 v[74:75], v[0:1], v[86:87] neg_lo:[0,1] neg_hi:[0,1]
	v_pk_add_f32 v[72:73], v[2:3], v[6:7]
	ds_write_b128 v235, v[72:75] offset:32
	v_pk_add_f32 v[72:73], v[108:109], v[102:103] neg_lo:[0,1] neg_hi:[0,1]
	v_pk_add_f32 v[74:75], v[78:79], v[82:83] neg_lo:[0,1] neg_hi:[0,1]
	ds_write_b128 v235, v[72:75] offset:48
	v_pk_add_f32 v[72:73], v[4:5], v[76:77] neg_lo:[0,1] neg_hi:[0,1]
	v_pk_add_f32 v[74:75], v[2:3], v[6:7] neg_lo:[0,1] neg_hi:[0,1]
	ds_write_b128 v235, v[72:75] offset:64
	s_waitcnt lgkmcnt(0)
	s_barrier
	ds_read2_b64 v[76:79], v185 offset1:160
	ds_read2_b64 v[80:83], v209 offset0:64 offset1:224
	ds_read2_b64 v[86:89], v195 offset0:64 offset1:224
	s_waitcnt lgkmcnt(2)
	v_pk_mul_f32 v[0:1], v[10:11], v[78:79] op_sel_hi:[0,1]
	v_pk_fma_f32 v[72:73], v[120:121], v[78:79], v[0:1] op_sel:[0,0,1] op_sel_hi:[1,1,0]
	v_pk_fma_f32 v[74:75], v[120:121], v[78:79], v[0:1] op_sel:[0,0,1] op_sel_hi:[0,1,0] neg_lo:[0,0,1] neg_hi:[0,0,1]
	s_waitcnt lgkmcnt(1)
	v_pk_mul_f32 v[0:1], v[118:119], v[82:83] op_sel:[1,0]
	ds_read2_b64 v[8:11], v191 offset0:64 offset1:224
	v_pk_fma_f32 v[6:7], v[118:119], v[82:83], v[0:1] op_sel:[0,0,1] op_sel_hi:[0,1,0]
	v_pk_fma_f32 v[4:5], v[118:119], v[82:83], v[0:1] op_sel:[0,0,1] op_sel_hi:[0,1,0] neg_lo:[0,0,1] neg_hi:[0,0,1]
	v_pk_mul_f32 v[0:1], v[124:125], v[80:81] op_sel:[1,0]
	v_mov_b32_e32 v4, v23
	v_pk_fma_f32 v[92:93], v[124:125], v[80:81], v[0:1] op_sel:[0,0,1] op_sel_hi:[0,1,0]
	v_pk_fma_f32 v[84:85], v[124:125], v[80:81], v[0:1] op_sel:[0,0,1] op_sel_hi:[0,1,0] neg_lo:[0,0,1] neg_hi:[0,0,1]
	ds_read2_b64 v[80:83], v128 offset1:160
	v_mov_b32_e32 v0, v127
	v_pk_mul_f32 v[0:1], v[0:1], v[76:77] op_sel_hi:[0,1]
	v_pk_fma_f32 v[94:95], v[126:127], v[76:77], v[0:1] op_sel:[0,0,1] op_sel_hi:[1,1,0]
	v_pk_fma_f32 v[96:97], v[126:127], v[76:77], v[0:1] op_sel:[0,0,1] op_sel_hi:[0,1,0] neg_lo:[0,0,1] neg_hi:[0,0,1]
	v_mov_b32_e32 v0, v15
	s_waitcnt lgkmcnt(0)
	v_pk_mul_f32 v[2:3], v[0:1], v[82:83] op_sel_hi:[0,1]
	v_pk_fma_f32 v[0:1], v[14:15], v[82:83], v[2:3] op_sel:[0,0,1] op_sel_hi:[1,1,0]
	v_pk_fma_f32 v[78:79], v[14:15], v[82:83], v[2:3] op_sel:[0,0,1] op_sel_hi:[0,1,0] neg_lo:[0,0,1] neg_hi:[0,0,1]
	v_pk_mul_f32 v[2:3], v[12:13], v[88:89] op_sel:[1,0]
	v_mov_b32_e32 v95, v97
	v_pk_fma_f32 v[14:15], v[12:13], v[88:89], v[2:3] op_sel:[0,0,1] op_sel_hi:[1,1,0]
	v_pk_fma_f32 v[76:77], v[12:13], v[88:89], v[2:3] op_sel:[0,0,1] op_sel_hi:[0,1,0] neg_lo:[0,0,1] neg_hi:[0,0,1]
	v_pk_mul_f32 v[2:3], v[112:113], v[86:87] op_sel:[1,0]
	v_mov_b32_e32 v93, v85
	v_pk_fma_f32 v[98:99], v[112:113], v[86:87], v[2:3] op_sel:[0,0,1] op_sel_hi:[1,1,0]
	v_pk_fma_f32 v[100:101], v[112:113], v[86:87], v[2:3] op_sel:[0,0,1] op_sel_hi:[0,1,0] neg_lo:[0,0,1] neg_hi:[0,0,1]
	ds_read2_b64 v[86:89], v233 offset1:160
	v_mov_b32_e32 v2, v115
	v_pk_mul_f32 v[2:3], v[2:3], v[80:81] op_sel_hi:[0,1]
	v_pk_fma_f32 v[102:103], v[114:115], v[80:81], v[2:3] op_sel:[0,0,1] op_sel_hi:[1,1,0]
	v_pk_fma_f32 v[104:105], v[114:115], v[80:81], v[2:3] op_sel:[0,0,1] op_sel_hi:[0,1,0] neg_lo:[0,0,1] neg_hi:[0,0,1]
	v_mov_b32_e32 v2, v19
	s_waitcnt lgkmcnt(0)
	v_pk_mul_f32 v[12:13], v[2:3], v[88:89] op_sel_hi:[0,1]
	v_pk_fma_f32 v[2:3], v[18:19], v[88:89], v[12:13] op_sel:[0,0,1] op_sel_hi:[1,1,0]
	v_pk_fma_f32 v[82:83], v[18:19], v[88:89], v[12:13] op_sel:[0,0,1] op_sel_hi:[0,1,0] neg_lo:[0,0,1] neg_hi:[0,0,1]
	v_pk_mul_f32 v[12:13], v[16:17], v[10:11] op_sel:[1,0]
	v_mov_b32_e32 v99, v101
	v_pk_fma_f32 v[80:81], v[16:17], v[10:11], v[12:13] op_sel:[0,0,1] op_sel_hi:[1,1,0]
	v_pk_fma_f32 v[18:19], v[16:17], v[10:11], v[12:13] op_sel:[0,0,1] op_sel_hi:[0,1,0] neg_lo:[0,0,1] neg_hi:[0,0,1]
	v_pk_mul_f32 v[10:11], v[20:21], v[8:9] op_sel:[1,0]
	v_mov_b32_e32 v103, v105
	v_pk_fma_f32 v[106:107], v[20:21], v[8:9], v[10:11] op_sel:[0,0,1] op_sel_hi:[1,1,0]
	v_pk_fma_f32 v[108:109], v[20:21], v[8:9], v[10:11] op_sel:[0,0,1] op_sel_hi:[0,1,0] neg_lo:[0,0,1] neg_hi:[0,0,1]
	v_pk_mul_f32 v[8:9], v[4:5], v[86:87] op_sel_hi:[0,1]
	v_pk_fma_f32 v[110:111], v[22:23], v[86:87], v[8:9] op_sel:[0,0,1] op_sel_hi:[1,1,0]
	v_pk_fma_f32 v[112:113], v[22:23], v[86:87], v[8:9] op_sel:[0,0,1] op_sel_hi:[0,1,0] neg_lo:[0,0,1] neg_hi:[0,0,1]
	ds_read2_b64 v[86:89], v188 offset1:160
	v_mov_b32_e32 v4, v27
	v_mov_b32_e32 v96, v106
	;; [unrolled: 1-line block ×4, first 2 shown]
	s_waitcnt lgkmcnt(0)
	v_pk_mul_f32 v[10:11], v[4:5], v[88:89] op_sel_hi:[0,1]
	v_pk_fma_f32 v[8:9], v[26:27], v[88:89], v[10:11] op_sel:[0,0,1] op_sel_hi:[1,1,0]
	v_pk_fma_f32 v[22:23], v[26:27], v[88:89], v[10:11] op_sel:[0,0,1] op_sel_hi:[0,1,0] neg_lo:[0,0,1] neg_hi:[0,0,1]
	ds_read2_b64 v[88:91], v184 offset0:64 offset1:224
	v_mov_b32_e32 v4, v31
	v_pk_add_f32 v[116:117], v[102:103], v[110:111]
	v_mov_b32_e32 v73, v75
	v_mov_b32_e32 v15, v77
	s_waitcnt lgkmcnt(0)
	v_pk_mul_f32 v[10:11], v[24:25], v[90:91] op_sel:[1,0]
	v_pk_mul_f32 v[12:13], v[28:29], v[88:89] op_sel:[1,0]
	v_pk_fma_f32 v[20:21], v[24:25], v[90:91], v[10:11] op_sel:[0,0,1] op_sel_hi:[1,1,0]
	v_pk_fma_f32 v[10:11], v[24:25], v[90:91], v[10:11] op_sel:[0,0,1] op_sel_hi:[0,1,0] neg_lo:[0,0,1] neg_hi:[0,0,1]
	ds_read2_b64 v[24:27], v189 offset0:64 offset1:224
	v_pk_fma_f32 v[90:91], v[28:29], v[88:89], v[12:13] op_sel:[0,0,1] op_sel_hi:[1,1,0]
	v_pk_fma_f32 v[28:29], v[28:29], v[88:89], v[12:13] op_sel:[0,0,1] op_sel_hi:[0,1,0] neg_lo:[0,0,1] neg_hi:[0,0,1]
	v_pk_mul_f32 v[12:13], v[4:5], v[86:87] op_sel_hi:[0,1]
	v_pk_fma_f32 v[88:89], v[30:31], v[86:87], v[12:13] op_sel:[0,0,1] op_sel_hi:[1,1,0]
	v_pk_fma_f32 v[30:31], v[30:31], v[86:87], v[12:13] op_sel:[0,0,1] op_sel_hi:[0,1,0] neg_lo:[0,0,1] neg_hi:[0,0,1]
	s_waitcnt lgkmcnt(0)
	v_pk_mul_f32 v[12:13], v[164:165], v[26:27] op_sel:[1,0]
	v_mov_b32_e32 v89, v31
	v_pk_fma_f32 v[16:17], v[164:165], v[26:27], v[12:13] op_sel:[0,0,1] op_sel_hi:[1,1,0]
	v_pk_fma_f32 v[12:13], v[164:165], v[26:27], v[12:13] op_sel:[0,0,1] op_sel_hi:[0,1,0] neg_lo:[0,0,1] neg_hi:[0,0,1]
	v_pk_mul_f32 v[26:27], v[166:167], v[24:25] op_sel:[1,0]
	v_mov_b32_e32 v30, v98
	v_pk_fma_f32 v[86:87], v[166:167], v[24:25], v[26:27] op_sel:[0,0,1] op_sel_hi:[1,1,0]
	v_mov_b32_e32 v97, v90
	v_mov_b32_e32 v31, v86
	v_pk_fma_f32 v[114:115], v[166:167], v[24:25], v[26:27] op_sel:[0,0,1] op_sel_hi:[0,1,0] neg_lo:[0,0,1] neg_hi:[0,0,1]
	v_pk_add_f32 v[24:25], v[30:31], v[96:97] neg_lo:[0,1] neg_hi:[0,1]
	v_mov_b32_e32 v91, v29
	v_mov_b32_e32 v4, v25
	v_pk_add_f32 v[104:105], v[24:25], v[4:5]
	v_pk_add_f32 v[24:25], v[92:93], v[98:99]
	v_mov_b32_e32 v114, v101
	v_pk_add_f32 v[24:25], v[24:25], v[106:107]
	v_mov_b32_e32 v28, v109
	v_pk_add_f32 v[112:113], v[106:107], v[90:91]
	v_pk_add_f32 v[106:107], v[106:107], v[90:91] neg_lo:[0,1] neg_hi:[0,1]
	v_pk_add_f32 v[90:91], v[24:25], v[90:91]
	v_pk_add_f32 v[24:25], v[114:115], v[28:29] neg_lo:[0,1] neg_hi:[0,1]
	v_pk_add_f32 v[26:27], v[88:89], v[110:111] neg_lo:[0,1] neg_hi:[0,1]
	v_mov_b32_e32 v4, v25
	v_pk_add_f32 v[100:101], v[24:25], v[4:5]
	v_pk_add_f32 v[24:25], v[94:95], v[102:103] neg_lo:[0,1] neg_hi:[0,1]
	v_mov_b32_e32 v87, v115
	v_pk_add_f32 v[108:109], v[24:25], v[26:27]
	ds_read2_b64 v[24:27], v192 offset1:160
	v_fma_f32 v1, -0.5, v112, v92
	v_fma_f32 v3, -0.5, v113, v85
	v_mov_b32_e32 v105, v107
	v_pk_add_f32 v[112:113], v[98:99], v[86:87] neg_lo:[0,1] neg_hi:[0,1]
	v_pk_add_f32 v[118:119], v[94:95], v[88:89] neg_lo:[0,1] neg_hi:[0,1]
	v_pk_mul_f32 v[104:105], v[104:105], s[2:3]
	v_fmamk_f32 v4, v113, 0xbf737871, v1
	v_mov_b32_e32 v101, v106
	s_waitcnt lgkmcnt(0)
	v_pk_fma_f32 v[116:117], v[116:117], 0.5, v[24:25] op_sel_hi:[1,0,1] neg_lo:[1,0,0] neg_hi:[1,0,0]
	v_pk_mul_f32 v[124:125], v[118:119], s[6:7] op_sel_hi:[1,0]
	v_sub_f32_e32 v7, v4, v105
	v_pk_mul_f32 v[100:101], v[100:101], s[2:3]
	v_fmamk_f32 v4, v112, 0x3f737871, v3
	v_pk_add_f32 v[126:127], v[116:117], v[124:125] op_sel:[0,1] op_sel_hi:[1,0] neg_lo:[0,1] neg_hi:[0,1]
	v_pk_add_f32 v[116:117], v[116:117], v[124:125] op_sel:[0,1] op_sel_hi:[1,0]
	v_pk_add_f32 v[124:125], v[102:103], v[110:111] neg_lo:[0,1] neg_hi:[0,1]
	v_add_f32_e32 v4, v101, v4
	v_pk_mul_f32 v[164:165], v[124:125], s[8:9] op_sel_hi:[1,0]
	v_add_f32_e32 v4, v100, v4
	v_pk_add_f32 v[116:117], v[116:117], v[164:165] op_sel:[0,1] op_sel_hi:[1,0]
	v_pk_add_f32 v[126:127], v[126:127], v[164:165] op_sel:[0,1] op_sel_hi:[1,0] neg_lo:[0,1] neg_hi:[0,1]
	v_pk_mul_f32 v[164:165], v[4:5], s[8:9] op_sel_hi:[0,1]
	v_add_f32_e32 v4, v104, v7
	v_pk_add_f32 v[30:31], v[96:97], v[30:31] neg_lo:[0,1] neg_hi:[0,1]
	v_pk_fma_f32 v[166:167], v[4:5], s[12:13], v[164:165] neg_lo:[0,0,1] neg_hi:[0,0,1]
	v_pk_fma_f32 v[164:165], v[4:5], s[12:13], v[164:165] op_sel_hi:[0,1,1]
	v_mov_b32_e32 v4, v31
	v_pk_add_f32 v[28:29], v[28:29], v[114:115] neg_lo:[0,1] neg_hi:[0,1]
	v_pk_add_f32 v[30:31], v[30:31], v[4:5]
	v_mov_b32_e32 v4, v29
	v_pk_add_f32 v[90:91], v[90:91], v[86:87]
	v_pk_add_f32 v[86:87], v[98:99], v[86:87]
	v_mov_b32_e32 v7, v92
	v_pk_add_f32 v[28:29], v[28:29], v[4:5]
	v_mov_b32_e32 v167, v165
	v_pk_add_f32 v[164:165], v[24:25], v[94:95]
	v_fmac_f32_e32 v7, -0.5, v86
	v_fmac_f32_e32 v85, -0.5, v87
	v_mov_b32_e32 v31, v113
	v_mov_b32_e32 v29, v112
	v_pk_add_f32 v[164:165], v[164:165], v[102:103]
	v_fmamk_f32 v4, v107, 0x3f737871, v7
	v_fmamk_f32 v9, v106, 0xbf737871, v85
	v_pk_mul_f32 v[30:31], v[30:31], s[2:3]
	v_pk_mul_f32 v[28:29], v[28:29], s[2:3]
	v_pk_add_f32 v[164:165], v[164:165], v[110:111]
	v_sub_f32_e32 v10, v4, v31
	v_add_f32_e32 v4, v29, v9
	v_pk_add_f32 v[164:165], v[164:165], v[88:89]
	v_pk_add_f32 v[86:87], v[102:103], v[94:95] neg_lo:[0,1] neg_hi:[0,1]
	v_pk_add_f32 v[92:93], v[94:95], v[88:89]
	v_pk_add_f32 v[88:89], v[110:111], v[88:89] neg_lo:[0,1] neg_hi:[0,1]
	v_add_f32_e32 v4, v28, v4
	v_pk_add_f32 v[86:87], v[86:87], v[88:89]
	v_pk_mul_f32 v[88:89], v[4:5], s[6:7] op_sel_hi:[0,1]
	v_add_f32_e32 v4, v30, v10
	v_pk_fma_f32 v[94:95], v[4:5], s[10:11], v[88:89] neg_lo:[0,0,1] neg_hi:[0,0,1]
	v_pk_fma_f32 v[88:89], v[4:5], s[10:11], v[88:89] op_sel_hi:[0,1,1]
	v_fmac_f32_e32 v7, 0xbf737871, v107
	v_fmac_f32_e32 v85, 0x3f737871, v106
	v_mov_b32_e32 v95, v89
	v_pk_fma_f32 v[24:25], v[92:93], 0.5, v[24:25] op_sel_hi:[1,0,1] neg_lo:[1,0,0] neg_hi:[1,0,0]
	v_pk_mul_f32 v[88:89], v[124:125], s[6:7] op_sel_hi:[1,0]
	v_add_f32_e32 v4, v31, v7
	v_pk_add_f32 v[92:93], v[24:25], v[88:89] op_sel:[0,1] op_sel_hi:[1,0]
	v_pk_add_f32 v[24:25], v[24:25], v[88:89] op_sel:[0,1] op_sel_hi:[1,0] neg_lo:[0,1] neg_hi:[0,1]
	v_pk_mul_f32 v[88:89], v[118:119], s[8:9] op_sel_hi:[1,0]
	v_sub_f32_e32 v7, v85, v29
	v_pk_add_f32 v[24:25], v[24:25], v[88:89] op_sel:[0,1] op_sel_hi:[1,0]
	v_pk_add_f32 v[88:89], v[92:93], v[88:89] op_sel:[0,1] op_sel_hi:[1,0] neg_lo:[0,1] neg_hi:[0,1]
	v_add_f32_e32 v10, v28, v7
	v_fmac_f32_e32 v1, 0x3f737871, v113
	v_add_f32_e32 v4, v30, v4
	v_pk_mul_f32 v[28:29], v[10:11], s[6:7] op_sel_hi:[0,1]
	v_mov_b32_e32 v30, v88
	v_mov_b32_e32 v31, v25
	;; [unrolled: 1-line block ×3, first 2 shown]
	v_fmac_f32_e32 v3, 0xbf737871, v112
	v_add_f32_e32 v1, v105, v1
	v_pk_fma_f32 v[28:29], v[4:5], s[14:15], v[28:29] op_sel_hi:[0,1,1] neg_lo:[0,0,1] neg_hi:[0,0,1]
	v_pk_fma_f32 v[30:31], v[86:87], s[2:3], v[30:31] op_sel_hi:[1,0,1]
	v_pk_fma_f32 v[24:25], v[86:87], s[2:3], v[24:25] op_sel_hi:[1,0,1]
	v_add_f32_e32 v4, v104, v1
	v_sub_f32_e32 v1, v3, v101
	v_pk_add_f32 v[84:85], v[30:31], v[94:95]
	v_pk_add_f32 v[86:87], v[24:25], v[28:29]
	v_add_f32_e32 v10, v100, v1
	s_barrier
	v_mov_b32_e32 v177, v117
	ds_write2_b64 v231, v[84:85], v[86:87] offset0:20 offset1:30
	v_pk_mul_f32 v[84:85], v[10:11], s[8:9] op_sel_hi:[0,1]
	v_mov_b32_e32 v117, v127
	v_pk_fma_f32 v[84:85], v[4:5], s[16:17], v[84:85] op_sel_hi:[0,1,1] neg_lo:[0,0,1] neg_hi:[0,0,1]
	v_pk_fma_f32 v[86:87], v[108:109], s[2:3], v[116:117] op_sel_hi:[1,0,1]
	v_mov_b32_e32 v176, v126
	v_pk_add_f32 v[24:25], v[24:25], v[28:29] neg_lo:[0,1] neg_hi:[0,1]
	v_pk_add_f32 v[28:29], v[86:87], v[84:85] neg_lo:[0,1] neg_hi:[0,1]
	v_mov_b32_e32 v1, v79
	v_mov_b32_e32 v3, v83
	;; [unrolled: 1-line block ×3, first 2 shown]
	v_pk_fma_f32 v[176:177], v[108:109], s[2:3], v[176:177] op_sel_hi:[1,0,1]
	v_pk_add_f32 v[186:187], v[164:165], v[90:91]
	v_pk_add_f32 v[88:89], v[164:165], v[90:91] neg_lo:[0,1] neg_hi:[0,1]
	v_pk_add_f32 v[90:91], v[86:87], v[84:85]
	ds_write2_b64 v231, v[24:25], v[28:29] offset0:80 offset1:90
	v_pk_add_f32 v[22:23], v[72:73], v[0:1] neg_lo:[0,1] neg_hi:[0,1]
	v_pk_add_f32 v[24:25], v[8:9], v[2:3] neg_lo:[0,1] neg_hi:[0,1]
	ds_write2_b64 v231, v[90:91], v[88:89] offset0:40 offset1:50
	v_pk_add_f32 v[88:89], v[176:177], v[166:167] neg_lo:[0,1] neg_hi:[0,1]
	v_pk_add_f32 v[30:31], v[30:31], v[94:95] neg_lo:[0,1] neg_hi:[0,1]
	v_pk_add_f32 v[22:23], v[22:23], v[24:25]
	v_mov_b32_e32 v24, v14
	v_mov_b32_e32 v25, v16
	;; [unrolled: 1-line block ×4, first 2 shown]
	ds_write2_b64 v231, v[88:89], v[30:31] offset0:60 offset1:70
	v_pk_add_f32 v[30:31], v[24:25], v[28:29] neg_lo:[0,1] neg_hi:[0,1]
	v_mov_b32_e32 v12, v77
	v_mov_b32_e32 v10, v19
	v_mov_b32_e32 v4, v31
	v_mov_b32_e32 v7, v5
	v_mov_b32_e32 v81, v19
	v_pk_add_f32 v[18:19], v[12:13], v[10:11] neg_lo:[0,1] neg_hi:[0,1]
	v_pk_add_f32 v[30:31], v[30:31], v[4:5]
	v_mov_b32_e32 v21, v11
	v_pk_add_f32 v[74:75], v[6:7], v[14:15]
	v_mov_b32_e32 v4, v19
	v_pk_add_f32 v[74:75], v[74:75], v[80:81]
	v_pk_add_f32 v[78:79], v[80:81], v[20:21]
	v_pk_add_f32 v[80:81], v[80:81], v[20:21] neg_lo:[0,1] neg_hi:[0,1]
	v_pk_add_f32 v[18:19], v[18:19], v[4:5]
	v_mov_b32_e32 v17, v13
	v_pk_add_f32 v[20:21], v[74:75], v[20:21]
	v_fma_f32 v4, -0.5, v78, v6
	v_fma_f32 v7, -0.5, v79, v5
	v_mov_b32_e32 v31, v81
	v_pk_add_f32 v[74:75], v[14:15], v[16:17] neg_lo:[0,1] neg_hi:[0,1]
	v_mov_b32_e32 v19, v80
	v_pk_mul_f32 v[30:31], v[30:31], s[2:3]
	v_fmamk_f32 v96, v75, 0xbf737871, v4
	v_fmac_f32_e32 v4, 0x3f737871, v75
	v_pk_mul_f32 v[18:19], v[18:19], s[2:3]
	v_fmamk_f32 v97, v74, 0x3f737871, v7
	v_fmac_f32_e32 v7, 0xbf737871, v74
	v_add_f32_e32 v78, v31, v4
	v_sub_f32_e32 v4, v7, v19
	v_add_f32_e32 v4, v18, v4
	v_pk_mul_f32 v[76:77], v[4:5], s[8:9] op_sel_hi:[0,1]
	v_add_f32_e32 v4, v30, v78
	v_pk_add_f32 v[78:79], v[0:1], v[2:3]
	v_pk_add_f32 v[82:83], v[72:73], v[8:9] neg_lo:[0,1] neg_hi:[0,1]
	v_pk_fma_f32 v[78:79], v[78:79], 0.5, v[26:27] op_sel_hi:[1,0,1] neg_lo:[1,0,0] neg_hi:[1,0,0]
	v_add_f32_e32 v7, v19, v97
	v_pk_fma_f32 v[76:77], v[4:5], s[16:17], v[76:77] op_sel_hi:[0,1,1] neg_lo:[0,0,1] neg_hi:[0,0,1]
	v_pk_fma_f32 v[84:85], v[82:83], s[6:7], v[78:79] op_sel:[1,0,0] op_sel_hi:[0,0,1]
	v_pk_fma_f32 v[78:79], v[82:83], s[6:7], v[78:79] op_sel:[1,0,0] op_sel_hi:[0,0,1] neg_lo:[1,0,0] neg_hi:[1,0,0]
	v_pk_add_f32 v[86:87], v[0:1], v[2:3] neg_lo:[0,1] neg_hi:[0,1]
	v_pk_add_f32 v[90:91], v[26:27], v[72:73]
	v_sub_f32_e32 v4, v96, v31
	v_add_f32_e32 v18, v18, v7
	v_pk_fma_f32 v[78:79], v[86:87], s[8:9], v[78:79] op_sel:[1,0,0] op_sel_hi:[0,0,1] neg_lo:[1,0,0] neg_hi:[1,0,0]
	v_pk_fma_f32 v[84:85], v[86:87], s[8:9], v[84:85] op_sel:[1,0,0] op_sel_hi:[0,0,1]
	v_pk_add_f32 v[90:91], v[90:91], v[0:1]
	v_add_f32_e32 v4, v30, v4
	v_pk_mul_f32 v[18:19], v[18:19], s[8:9] op_sel_hi:[0,1]
	v_mov_b32_e32 v89, v79
	v_pk_add_f32 v[90:91], v[90:91], v[2:3]
	v_pk_fma_f32 v[30:31], v[4:5], s[12:13], v[18:19] neg_lo:[0,0,1] neg_hi:[0,0,1]
	v_pk_fma_f32 v[18:19], v[4:5], s[12:13], v[18:19] op_sel_hi:[0,1,1]
	v_mov_b32_e32 v79, v85
	v_mov_b32_e32 v88, v84
	v_pk_add_f32 v[20:21], v[20:21], v[16:17]
	v_pk_add_f32 v[90:91], v[90:91], v[8:9]
	v_mov_b32_e32 v31, v19
	v_pk_fma_f32 v[18:19], v[22:23], s[2:3], v[78:79] op_sel_hi:[1,0,1]
	v_pk_add_f32 v[240:241], v[176:177], v[166:167]
	v_pk_fma_f32 v[88:89], v[22:23], s[2:3], v[88:89] op_sel_hi:[1,0,1]
	v_pk_add_f32 v[92:93], v[90:91], v[20:21] neg_lo:[0,1] neg_hi:[0,1]
	v_pk_add_f32 v[20:21], v[90:91], v[20:21]
	v_pk_add_f32 v[22:23], v[18:19], v[30:31]
	;; [unrolled: 1-line block ×3, first 2 shown]
	v_pk_add_f32 v[16:17], v[28:29], v[24:25] neg_lo:[0,1] neg_hi:[0,1]
	ds_write2_b64 v231, v[186:187], v[240:241] offset1:10
	ds_write2_b64 v217, v[20:21], v[22:23] offset1:10
	v_mov_b32_e32 v4, v17
	v_mov_b32_e32 v22, v6
	v_pk_add_f32 v[6:7], v[10:11], v[12:13] neg_lo:[0,1] neg_hi:[0,1]
	v_pk_add_f32 v[16:17], v[16:17], v[4:5]
	v_fmac_f32_e32 v5, -0.5, v15
	v_mov_b32_e32 v4, v7
	v_pk_add_f32 v[6:7], v[6:7], v[4:5]
	v_fmac_f32_e32 v22, -0.5, v14
	v_mov_b32_e32 v7, v74
	v_mov_b32_e32 v17, v75
	v_fmamk_f32 v14, v80, 0xbf737871, v5
	v_fmac_f32_e32 v5, 0x3f737871, v80
	v_pk_mul_f32 v[6:7], v[6:7], s[2:3]
	v_fmamk_f32 v13, v81, 0x3f737871, v22
	v_fmac_f32_e32 v22, 0xbf737871, v81
	v_sub_f32_e32 v10, v5, v7
	v_pk_mul_f32 v[4:5], v[16:17], s[2:3]
	v_pk_add_f32 v[20:21], v[72:73], v[8:9]
	v_add_f32_e32 v12, v5, v22
	v_sub_f32_e32 v5, v13, v5
	v_add_f32_e32 v12, v4, v12
	v_add_f32_e32 v4, v4, v5
	;; [unrolled: 1-line block ×3, first 2 shown]
	v_pk_fma_f32 v[20:21], v[20:21], 0.5, v[26:27] op_sel_hi:[1,0,1] neg_lo:[1,0,0] neg_hi:[1,0,0]
	v_add_f32_e32 v10, v6, v10
	v_pk_add_f32 v[0:1], v[0:1], v[72:73] neg_lo:[0,1] neg_hi:[0,1]
	v_pk_add_f32 v[2:3], v[2:3], v[8:9] neg_lo:[0,1] neg_hi:[0,1]
	v_add_f32_e32 v6, v6, v5
	v_pk_mul_f32 v[10:11], v[10:11], s[6:7] op_sel_hi:[0,1]
	v_pk_add_f32 v[0:1], v[0:1], v[2:3]
	v_pk_fma_f32 v[2:3], v[86:87], s[6:7], v[20:21] op_sel:[1,0,0] op_sel_hi:[0,0,1] neg_lo:[1,0,0] neg_hi:[1,0,0]
	v_pk_fma_f32 v[8:9], v[86:87], s[6:7], v[20:21] op_sel:[1,0,0] op_sel_hi:[0,0,1]
	v_pk_mul_f32 v[6:7], v[6:7], s[6:7] op_sel_hi:[0,1]
	v_pk_fma_f32 v[10:11], v[12:13], s[14:15], v[10:11] op_sel_hi:[0,1,1] neg_lo:[0,0,1] neg_hi:[0,0,1]
	v_pk_fma_f32 v[8:9], v[82:83], s[8:9], v[8:9] op_sel:[1,0,0] op_sel_hi:[0,0,1] neg_lo:[1,0,0] neg_hi:[1,0,0]
	v_pk_fma_f32 v[2:3], v[82:83], s[8:9], v[2:3] op_sel:[1,0,0] op_sel_hi:[0,0,1]
	v_pk_fma_f32 v[12:13], v[4:5], s[10:11], v[6:7] neg_lo:[0,0,1] neg_hi:[0,0,1]
	v_pk_fma_f32 v[4:5], v[4:5], s[10:11], v[6:7] op_sel_hi:[0,1,1]
	v_mov_b32_e32 v13, v5
	v_mov_b32_e32 v4, v2
	;; [unrolled: 1-line block ×4, first 2 shown]
	v_pk_fma_f32 v[2:3], v[0:1], s[2:3], v[4:5] op_sel_hi:[1,0,1]
	v_pk_fma_f32 v[0:1], v[0:1], s[2:3], v[8:9] op_sel_hi:[1,0,1]
	v_pk_add_f32 v[4:5], v[2:3], v[10:11]
	v_pk_add_f32 v[6:7], v[0:1], v[12:13]
	ds_write2_b64 v217, v[6:7], v[4:5] offset0:20 offset1:30
	v_pk_add_f32 v[4:5], v[18:19], v[30:31] neg_lo:[0,1] neg_hi:[0,1]
	v_pk_add_f32 v[0:1], v[0:1], v[12:13] neg_lo:[0,1] neg_hi:[0,1]
	v_pk_add_f32 v[94:95], v[88:89], v[76:77]
	ds_write2_b64 v217, v[4:5], v[0:1] offset0:60 offset1:70
	v_pk_add_f32 v[0:1], v[88:89], v[76:77] neg_lo:[0,1] neg_hi:[0,1]
	v_pk_add_f32 v[2:3], v[2:3], v[10:11] neg_lo:[0,1] neg_hi:[0,1]
	ds_write2_b64 v217, v[94:95], v[92:93] offset0:40 offset1:50
	ds_write2_b64 v217, v[2:3], v[0:1] offset0:80 offset1:90
	s_waitcnt lgkmcnt(0)
	s_barrier
	ds_read2_b64 v[0:3], v184 offset0:64 offset1:224
	ds_read2_b64 v[4:7], v128 offset1:160
	s_waitcnt lgkmcnt(1)
	v_pk_mul_f32 v[8:9], v[198:199], v[2:3] op_sel:[1,0]
	s_nop 0
	v_pk_fma_f32 v[10:11], v[198:199], v[2:3], v[8:9] op_sel:[0,0,1] op_sel_hi:[1,1,0]
	v_pk_fma_f32 v[8:9], v[198:199], v[2:3], v[8:9] op_sel:[0,0,1] op_sel_hi:[0,1,0] neg_lo:[0,0,1] neg_hi:[0,0,1]
	v_pk_mul_f32 v[2:3], v[216:217], v[0:1] op_sel_hi:[0,1]
	v_pk_fma_f32 v[18:19], v[34:35], v[0:1], v[2:3] op_sel:[0,0,1] op_sel_hi:[1,1,0]
	v_pk_fma_f32 v[20:21], v[34:35], v[0:1], v[2:3] op_sel:[0,0,1] op_sel_hi:[0,1,0] neg_lo:[0,0,1] neg_hi:[0,0,1]
	s_waitcnt lgkmcnt(0)
	v_mov_b32_e32 v0, v7
	v_pk_mul_f32 v[2:3], v[32:33], v[6:7] op_sel_hi:[1,0]
	v_pk_mul_f32 v[12:13], v[36:37], v[4:5] op_sel_hi:[1,0]
	v_pk_fma_f32 v[22:23], v[32:33], v[0:1], v[2:3] op_sel:[0,0,1] op_sel_hi:[1,1,0] neg_lo:[0,0,1] neg_hi:[0,0,1]
	v_pk_fma_f32 v[24:25], v[32:33], v[6:7], v[2:3] op_sel:[0,1,1] op_sel_hi:[1,1,0]
	ds_read2_b64 v[0:3], v233 offset1:160
	v_mov_b32_e32 v6, v5
	v_pk_fma_f32 v[26:27], v[36:37], v[4:5], v[12:13] op_sel:[0,1,1] op_sel_hi:[1,1,0]
	v_pk_fma_f32 v[28:29], v[36:37], v[6:7], v[12:13] op_sel:[0,0,1] op_sel_hi:[1,1,0] neg_lo:[0,0,1] neg_hi:[0,0,1]
	ds_read2_b64 v[4:7], v195 offset0:64 offset1:224
	s_waitcnt lgkmcnt(1)
	v_pk_mul_f32 v[12:13], v[194:195], v[2:3] op_sel_hi:[0,1]
	v_pk_fma_f32 v[30:31], v[38:39], v[2:3], v[12:13] op_sel:[0,0,1] op_sel_hi:[1,1,0]
	v_pk_fma_f32 v[32:33], v[38:39], v[2:3], v[12:13] op_sel:[0,0,1] op_sel_hi:[0,1,0] neg_lo:[0,0,1] neg_hi:[0,0,1]
	v_accvgpr_read_b32 v2, a18
	v_pk_mul_f32 v[2:3], v[2:3], v[0:1] op_sel_hi:[0,1]
	v_pk_fma_f32 v[36:37], v[50:51], v[0:1], v[2:3] op_sel:[0,0,1] op_sel_hi:[1,1,0]
	v_pk_fma_f32 v[38:39], v[50:51], v[0:1], v[2:3] op_sel:[0,0,1] op_sel_hi:[0,1,0] neg_lo:[0,0,1] neg_hi:[0,0,1]
	s_waitcnt lgkmcnt(0)
	v_mov_b32_e32 v0, v7
	v_pk_mul_f32 v[2:3], v[48:49], v[6:7] op_sel_hi:[1,0]
	v_pk_mul_f32 v[12:13], v[44:45], v[4:5] op_sel_hi:[1,0]
	v_pk_fma_f32 v[72:73], v[48:49], v[0:1], v[2:3] op_sel:[0,0,1] op_sel_hi:[1,1,0] neg_lo:[0,0,1] neg_hi:[0,0,1]
	v_pk_fma_f32 v[48:49], v[48:49], v[6:7], v[2:3] op_sel:[0,1,1] op_sel_hi:[1,1,0]
	ds_read2_b64 v[0:3], v191 offset0:64 offset1:224
	v_mov_b32_e32 v6, v5
	v_pk_fma_f32 v[74:75], v[44:45], v[4:5], v[12:13] op_sel:[0,1,1] op_sel_hi:[1,1,0]
	v_pk_fma_f32 v[44:45], v[44:45], v[6:7], v[12:13] op_sel:[0,0,1] op_sel_hi:[1,1,0] neg_lo:[0,0,1] neg_hi:[0,0,1]
	ds_read2_b64 v[4:7], v185 offset1:160
	s_waitcnt lgkmcnt(1)
	v_pk_mul_f32 v[12:13], v[190:191], v[2:3] op_sel_hi:[0,1]
	v_pk_fma_f32 v[76:77], v[46:47], v[2:3], v[12:13] op_sel:[0,0,1] op_sel_hi:[1,1,0]
	v_pk_fma_f32 v[78:79], v[46:47], v[2:3], v[12:13] op_sel:[0,0,1] op_sel_hi:[0,1,0] neg_lo:[0,0,1] neg_hi:[0,0,1]
	v_accvgpr_read_b32 v2, a20
	v_pk_mul_f32 v[2:3], v[2:3], v[0:1] op_sel_hi:[0,1]
	v_pk_fma_f32 v[12:13], v[58:59], v[0:1], v[2:3] op_sel:[0,0,1] op_sel_hi:[1,1,0]
	v_pk_fma_f32 v[14:15], v[58:59], v[0:1], v[2:3] op_sel:[0,0,1] op_sel_hi:[0,1,0] neg_lo:[0,0,1] neg_hi:[0,0,1]
	ds_read2_b64 v[0:3], v192 offset1:160
	s_waitcnt lgkmcnt(1)
	v_pk_mul_f32 v[16:17], v[56:57], v[6:7] op_sel:[1,0]
	v_mov_b32_e32 v13, v15
	v_pk_fma_f32 v[80:81], v[56:57], v[6:7], v[16:17] op_sel:[0,0,1] op_sel_hi:[1,1,0]
	v_pk_fma_f32 v[6:7], v[56:57], v[6:7], v[16:17] op_sel:[0,0,1] op_sel_hi:[0,1,0] neg_lo:[0,0,1] neg_hi:[0,0,1]
	v_mov_b32_e32 v81, v7
	v_mov_b32_e32 v11, v9
	s_waitcnt lgkmcnt(0)
	v_pk_add_f32 v[56:57], v[0:1], v[12:13] neg_lo:[0,1] neg_hi:[0,1]
	v_pk_add_f32 v[6:7], v[80:81], v[10:11] neg_lo:[0,1] neg_hi:[0,1]
	v_pk_fma_f32 v[0:1], v[0:1], 2.0, v[56:57] op_sel_hi:[1,0,1] neg_lo:[0,0,1] neg_hi:[0,0,1]
	v_pk_fma_f32 v[8:9], v[80:81], 2.0, v[6:7] op_sel_hi:[1,0,1] neg_lo:[0,0,1] neg_hi:[0,0,1]
	v_pk_add_f32 v[80:81], v[56:57], v[6:7] op_sel:[0,1] op_sel_hi:[1,0]
	v_pk_add_f32 v[6:7], v[56:57], v[6:7] op_sel:[0,1] op_sel_hi:[1,0] neg_lo:[0,1] neg_hi:[0,1]
	v_pk_add_f32 v[82:83], v[0:1], v[8:9] neg_lo:[0,1] neg_hi:[0,1]
	v_mov_b32_e32 v81, v7
	ds_read2_b64 v[6:9], v188 offset1:160
	ds_read2_b64 v[10:13], v209 offset0:64 offset1:224
	ds_read2_b64 v[14:17], v189 offset0:64 offset1:224
	v_pk_fma_f32 v[0:1], v[0:1], 2.0, v[82:83] op_sel_hi:[1,0,1] neg_lo:[0,0,1] neg_hi:[0,0,1]
	v_pk_fma_f32 v[56:57], v[56:57], 2.0, v[80:81] op_sel_hi:[1,0,1] neg_lo:[0,0,1] neg_hi:[0,0,1]
	s_waitcnt lgkmcnt(0)
	s_barrier
	ds_write2_b64 v35, v[0:1], v[56:57] offset1:100
	v_accvgpr_read_b32 v0, a9
	ds_write2_b64 v0, v[82:83], v[80:81] offset0:72 offset1:172
	v_mov_b32_e32 v0, v7
	v_pk_mul_f32 v[34:35], v[170:171], v[6:7] op_sel_hi:[1,0]
	v_mov_b32_e32 v45, v75
	v_pk_fma_f32 v[0:1], v[170:171], v[0:1], v[34:35] op_sel:[0,0,1] op_sel_hi:[1,1,0] neg_lo:[0,0,1] neg_hi:[0,0,1]
	v_pk_fma_f32 v[6:7], v[170:171], v[6:7], v[34:35] op_sel:[0,1,1] op_sel_hi:[1,1,0]
	v_mov_b32_e32 v77, v79
	v_mov_b32_e32 v1, v7
	v_pk_add_f32 v[6:7], v[2:3], v[76:77] neg_lo:[0,1] neg_hi:[0,1]
	v_pk_add_f32 v[0:1], v[44:45], v[0:1] neg_lo:[0,1] neg_hi:[0,1]
	v_pk_fma_f32 v[2:3], v[2:3], 2.0, v[6:7] op_sel_hi:[1,0,1] neg_lo:[0,0,1] neg_hi:[0,0,1]
	v_pk_add_f32 v[34:35], v[6:7], v[0:1]
	v_pk_add_f32 v[56:57], v[6:7], v[0:1] neg_lo:[0,1] neg_hi:[0,1]
	v_pk_fma_f32 v[0:1], v[44:45], 2.0, v[0:1] op_sel_hi:[1,0,1] neg_lo:[0,0,1] neg_hi:[0,0,1]
	v_mov_b32_e32 v35, v57
	v_pk_add_f32 v[0:1], v[2:3], v[0:1] op_sel:[0,1] op_sel_hi:[1,0] neg_lo:[0,1] neg_hi:[0,1]
	v_pk_fma_f32 v[6:7], v[6:7], 2.0, v[34:35] op_sel_hi:[1,0,1] neg_lo:[0,0,1] neg_hi:[0,0,1]
	v_pk_fma_f32 v[2:3], v[2:3], 2.0, v[0:1] op_sel_hi:[1,0,1] neg_lo:[0,0,1] neg_hi:[0,0,1]
	ds_write2_b64 v123, v[2:3], v[6:7] offset1:100
	v_accvgpr_read_b32 v2, a11
	ds_write2_b64 v2, v[0:1], v[34:35] offset0:72 offset1:172
	v_mov_b32_e32 v0, v9
	v_pk_mul_f32 v[2:3], v[168:169], v[8:9] op_sel_hi:[1,0]
	v_mov_b32_e32 v73, v49
	v_pk_fma_f32 v[6:7], v[168:169], v[8:9], v[2:3] op_sel:[0,1,1] op_sel_hi:[1,1,0]
	v_pk_fma_f32 v[0:1], v[168:169], v[0:1], v[2:3] op_sel:[0,0,1] op_sel_hi:[1,1,0] neg_lo:[0,0,1] neg_hi:[0,0,1]
	v_mov_b32_e32 v37, v39
	v_mov_b32_e32 v1, v7
	v_pk_add_f32 v[2:3], v[10:11], v[36:37] neg_lo:[0,1] neg_hi:[0,1]
	v_pk_add_f32 v[0:1], v[72:73], v[0:1] neg_lo:[0,1] neg_hi:[0,1]
	v_mov_b32_e32 v29, v27
	v_pk_add_f32 v[6:7], v[2:3], v[0:1]
	v_pk_add_f32 v[8:9], v[2:3], v[0:1] neg_lo:[0,1] neg_hi:[0,1]
	v_pk_fma_f32 v[0:1], v[72:73], 2.0, v[0:1] op_sel_hi:[1,0,1] neg_lo:[0,0,1] neg_hi:[0,0,1]
	v_mov_b32_e32 v7, v9
	v_pk_fma_f32 v[8:9], v[2:3], 2.0, v[6:7] op_sel_hi:[1,0,1] neg_lo:[0,0,1] neg_hi:[0,0,1]
	v_pk_fma_f32 v[2:3], v[10:11], 2.0, v[2:3] op_sel_hi:[1,0,1] neg_lo:[0,0,1] neg_hi:[0,0,1]
	v_mov_b32_e32 v31, v33
	v_pk_add_f32 v[0:1], v[2:3], v[0:1] op_sel:[0,1] op_sel_hi:[1,0] neg_lo:[0,1] neg_hi:[0,1]
	v_mov_b32_e32 v23, v25
	v_pk_fma_f32 v[2:3], v[2:3], 2.0, v[0:1] op_sel_hi:[1,0,1] neg_lo:[0,0,1] neg_hi:[0,0,1]
	ds_write2_b64 v51, v[2:3], v[8:9] offset1:100
	ds_write2_b64 v121, v[0:1], v[6:7] offset0:72 offset1:172
	v_mov_b32_e32 v0, v15
	v_pk_mul_f32 v[2:3], v[162:163], v[14:15] op_sel_hi:[1,0]
	v_mov_b32_e32 v19, v21
	v_pk_fma_f32 v[0:1], v[162:163], v[0:1], v[2:3] op_sel:[0,0,1] op_sel_hi:[1,1,0] neg_lo:[0,0,1] neg_hi:[0,0,1]
	v_pk_fma_f32 v[2:3], v[162:163], v[14:15], v[2:3] op_sel:[0,1,1] op_sel_hi:[1,1,0]
	s_nop 0
	v_mov_b32_e32 v1, v3
	v_pk_add_f32 v[2:3], v[12:13], v[30:31] neg_lo:[0,1] neg_hi:[0,1]
	v_pk_add_f32 v[0:1], v[28:29], v[0:1] neg_lo:[0,1] neg_hi:[0,1]
	s_nop 0
	v_pk_add_f32 v[6:7], v[2:3], v[0:1]
	v_pk_add_f32 v[8:9], v[2:3], v[0:1] neg_lo:[0,1] neg_hi:[0,1]
	v_pk_fma_f32 v[0:1], v[28:29], 2.0, v[0:1] op_sel_hi:[1,0,1] neg_lo:[0,0,1] neg_hi:[0,0,1]
	v_mov_b32_e32 v7, v9
	v_pk_fma_f32 v[8:9], v[12:13], 2.0, v[2:3] op_sel_hi:[1,0,1] neg_lo:[0,0,1] neg_hi:[0,0,1]
	v_pk_fma_f32 v[2:3], v[2:3], 2.0, v[6:7] op_sel_hi:[1,0,1] neg_lo:[0,0,1] neg_hi:[0,0,1]
	v_pk_add_f32 v[0:1], v[8:9], v[0:1] op_sel:[0,1] op_sel_hi:[1,0] neg_lo:[0,1] neg_hi:[0,1]
	s_nop 0
	v_pk_fma_f32 v[8:9], v[8:9], 2.0, v[0:1] op_sel_hi:[1,0,1] neg_lo:[0,0,1] neg_hi:[0,0,1]
	ds_write2_b64 v59, v[8:9], v[2:3] offset1:100
	v_accvgpr_read_b32 v2, a7
	ds_write2_b64 v2, v[0:1], v[6:7] offset0:72 offset1:172
	v_mov_b32_e32 v0, v17
	v_pk_mul_f32 v[2:3], v[160:161], v[16:17] op_sel_hi:[1,0]
	s_nop 0
	v_pk_fma_f32 v[6:7], v[160:161], v[16:17], v[2:3] op_sel:[0,1,1] op_sel_hi:[1,1,0]
	v_pk_fma_f32 v[0:1], v[160:161], v[0:1], v[2:3] op_sel:[0,0,1] op_sel_hi:[1,1,0] neg_lo:[0,0,1] neg_hi:[0,0,1]
	v_pk_add_f32 v[2:3], v[4:5], v[18:19] neg_lo:[0,1] neg_hi:[0,1]
	v_mov_b32_e32 v1, v7
	v_pk_add_f32 v[0:1], v[22:23], v[0:1] neg_lo:[0,1] neg_hi:[0,1]
	v_pk_fma_f32 v[4:5], v[4:5], 2.0, v[2:3] op_sel_hi:[1,0,1] neg_lo:[0,0,1] neg_hi:[0,0,1]
	v_pk_add_f32 v[6:7], v[2:3], v[0:1]
	v_pk_add_f32 v[8:9], v[2:3], v[0:1] neg_lo:[0,1] neg_hi:[0,1]
	v_pk_fma_f32 v[0:1], v[22:23], 2.0, v[0:1] op_sel_hi:[1,0,1] neg_lo:[0,0,1] neg_hi:[0,0,1]
	v_mov_b32_e32 v7, v9
	v_pk_add_f32 v[0:1], v[4:5], v[0:1] op_sel:[0,1] op_sel_hi:[1,0] neg_lo:[0,1] neg_hi:[0,1]
	v_pk_fma_f32 v[2:3], v[2:3], 2.0, v[6:7] op_sel_hi:[1,0,1] neg_lo:[0,0,1] neg_hi:[0,0,1]
	v_pk_fma_f32 v[4:5], v[4:5], 2.0, v[0:1] op_sel_hi:[1,0,1] neg_lo:[0,0,1] neg_hi:[0,0,1]
	ds_write2_b64 v47, v[4:5], v[2:3] offset1:100
	v_accvgpr_read_b32 v2, a5
	ds_write2_b64 v2, v[0:1], v[6:7] offset0:72 offset1:172
	s_waitcnt lgkmcnt(0)
	s_barrier
	ds_read2_b64 v[0:3], v188 offset1:160
	ds_read2_b64 v[4:7], v184 offset0:64 offset1:224
	s_waitcnt lgkmcnt(1)
	v_pk_mul_f32 v[8:9], v[238:239], v[0:1] op_sel:[1,0]
	s_nop 0
	v_pk_fma_f32 v[10:11], v[238:239], v[0:1], v[8:9] op_sel:[0,0,1] op_sel_hi:[1,1,0]
	v_pk_fma_f32 v[12:13], v[238:239], v[0:1], v[8:9] op_sel:[0,0,1] op_sel_hi:[0,1,0] neg_lo:[0,0,1] neg_hi:[0,0,1]
	v_pk_mul_f32 v[0:1], v[236:237], v[2:3] op_sel:[1,0]
	s_waitcnt lgkmcnt(0)
	v_pk_mul_f32 v[8:9], v[196:197], v[6:7] op_sel:[1,0]
	v_pk_fma_f32 v[14:15], v[236:237], v[2:3], v[0:1] op_sel:[0,0,1] op_sel_hi:[1,1,0]
	v_pk_fma_f32 v[16:17], v[236:237], v[2:3], v[0:1] op_sel:[0,0,1] op_sel_hi:[0,1,0] neg_lo:[0,0,1] neg_hi:[0,0,1]
	ds_read2_b64 v[0:3], v128 offset1:160
	v_pk_fma_f32 v[18:19], v[196:197], v[6:7], v[8:9] op_sel:[0,0,1] op_sel_hi:[1,1,0]
	v_pk_fma_f32 v[20:21], v[196:197], v[6:7], v[8:9] op_sel:[0,0,1] op_sel_hi:[0,1,0] neg_lo:[0,0,1] neg_hi:[0,0,1]
	v_pk_mul_f32 v[6:7], v[234:235], v[4:5] op_sel_hi:[0,1]
	v_pk_fma_f32 v[22:23], v[66:67], v[4:5], v[6:7] op_sel:[0,0,1] op_sel_hi:[1,1,0]
	v_pk_fma_f32 v[24:25], v[66:67], v[4:5], v[6:7] op_sel:[0,0,1] op_sel_hi:[0,1,0] neg_lo:[0,0,1] neg_hi:[0,0,1]
	s_waitcnt lgkmcnt(0)
	v_mov_b32_e32 v4, v3
	v_pk_mul_f32 v[6:7], v[64:65], v[2:3] op_sel_hi:[1,0]
	v_pk_mul_f32 v[30:31], v[60:61], v[0:1] op_sel_hi:[1,0]
	v_pk_fma_f32 v[26:27], v[64:65], v[4:5], v[6:7] op_sel:[0,0,1] op_sel_hi:[1,1,0] neg_lo:[0,0,1] neg_hi:[0,0,1]
	v_pk_fma_f32 v[28:29], v[64:65], v[2:3], v[6:7] op_sel:[0,1,1] op_sel_hi:[1,1,0]
	ds_read2_b64 v[2:5], v233 offset1:160
	ds_read2_b64 v[6:9], v189 offset0:64 offset1:224
	v_mov_b32_e32 v12, v1
	v_pk_fma_f32 v[32:33], v[60:61], v[0:1], v[30:31] op_sel:[0,1,1] op_sel_hi:[1,1,0]
	v_pk_fma_f32 v[30:31], v[60:61], v[12:13], v[30:31] op_sel:[0,0,1] op_sel_hi:[1,1,0] neg_lo:[0,0,1] neg_hi:[0,0,1]
	s_waitcnt lgkmcnt(1)
	v_pk_mul_f32 v[0:1], v[232:233], v[4:5] op_sel_hi:[0,1]
	v_pk_fma_f32 v[34:35], v[62:63], v[4:5], v[0:1] op_sel:[0,0,1] op_sel_hi:[1,1,0]
	v_pk_fma_f32 v[36:37], v[62:63], v[4:5], v[0:1] op_sel:[0,0,1] op_sel_hi:[0,1,0] neg_lo:[0,0,1] neg_hi:[0,0,1]
	s_waitcnt lgkmcnt(0)
	v_mov_b32_e32 v0, v7
	v_pk_mul_f32 v[4:5], v[202:203], v[6:7] op_sel_hi:[1,0]
	v_pk_mul_f32 v[46:47], v[200:201], v[8:9] op_sel_hi:[1,0]
	v_pk_fma_f32 v[38:39], v[202:203], v[0:1], v[4:5] op_sel:[0,0,1] op_sel_hi:[1,1,0] neg_lo:[0,0,1] neg_hi:[0,0,1]
	v_pk_fma_f32 v[44:45], v[202:203], v[6:7], v[4:5] op_sel:[0,1,1] op_sel_hi:[1,1,0]
	ds_read2_b64 v[4:7], v195 offset0:64 offset1:224
	v_mov_b32_e32 v0, v9
	v_pk_fma_f32 v[8:9], v[200:201], v[8:9], v[46:47] op_sel:[0,1,1] op_sel_hi:[1,1,0]
	v_pk_fma_f32 v[46:47], v[200:201], v[0:1], v[46:47] op_sel:[0,0,1] op_sel_hi:[1,1,0] neg_lo:[0,0,1] neg_hi:[0,0,1]
	v_pk_mul_f32 v[0:1], v[230:231], v[2:3] op_sel_hi:[0,1]
	v_pk_fma_f32 v[48:49], v[70:71], v[2:3], v[0:1] op_sel:[0,0,1] op_sel_hi:[1,1,0]
	v_pk_fma_f32 v[50:51], v[70:71], v[2:3], v[0:1] op_sel:[0,0,1] op_sel_hi:[0,1,0] neg_lo:[0,0,1] neg_hi:[0,0,1]
	s_waitcnt lgkmcnt(0)
	v_pk_mul_f32 v[56:57], v[68:69], v[6:7] op_sel:[1,0]
	ds_read2_b64 v[0:3], v191 offset0:64 offset1:224
	v_pk_fma_f32 v[58:59], v[68:69], v[6:7], v[56:57] op_sel:[0,0,1] op_sel_hi:[1,1,0]
	v_pk_fma_f32 v[56:57], v[68:69], v[6:7], v[56:57] op_sel:[0,0,1] op_sel_hi:[0,1,0] neg_lo:[0,0,1] neg_hi:[0,0,1]
	v_pk_mul_f32 v[6:7], v[52:53], v[4:5] op_sel:[1,0]
	v_mov_b32_e32 v19, v21
	v_pk_fma_f32 v[60:61], v[52:53], v[4:5], v[6:7] op_sel:[0,0,1] op_sel_hi:[1,1,0]
	v_pk_fma_f32 v[52:53], v[52:53], v[4:5], v[6:7] op_sel:[0,0,1] op_sel_hi:[0,1,0] neg_lo:[0,0,1] neg_hi:[0,0,1]
	ds_read2_b64 v[4:7], v185 offset1:160
	s_waitcnt lgkmcnt(1)
	v_pk_mul_f32 v[64:65], v[214:215], v[2:3] op_sel_hi:[0,1]
	v_pk_fma_f32 v[68:69], v[54:55], v[2:3], v[64:65] op_sel:[0,0,1] op_sel_hi:[1,1,0]
	v_pk_fma_f32 v[64:65], v[54:55], v[2:3], v[64:65] op_sel:[0,0,1] op_sel_hi:[0,1,0] neg_lo:[0,0,1] neg_hi:[0,0,1]
	v_pk_mul_f32 v[2:3], v[208:209], v[0:1] op_sel_hi:[0,1]
	v_pk_fma_f32 v[72:73], v[42:43], v[0:1], v[2:3] op_sel:[0,0,1] op_sel_hi:[1,1,0]
	v_pk_fma_f32 v[0:1], v[42:43], v[0:1], v[2:3] op_sel:[0,0,1] op_sel_hi:[0,1,0] neg_lo:[0,0,1] neg_hi:[0,0,1]
	s_waitcnt lgkmcnt(0)
	v_pk_mul_f32 v[2:3], v[40:41], v[6:7] op_sel:[1,0]
	v_mov_b32_e32 v73, v1
	v_pk_fma_f32 v[74:75], v[40:41], v[6:7], v[2:3] op_sel:[0,0,1] op_sel_hi:[1,1,0]
	v_pk_fma_f32 v[2:3], v[40:41], v[6:7], v[2:3] op_sel:[0,0,1] op_sel_hi:[0,1,0] neg_lo:[0,0,1] neg_hi:[0,0,1]
	v_mov_b32_e32 v75, v3
	ds_read2_b64 v[0:3], v192 offset1:160
	v_mov_b32_e32 v61, v53
	v_mov_b32_e32 v69, v65
	;; [unrolled: 1-line block ×4, first 2 shown]
	s_waitcnt lgkmcnt(0)
	v_pk_add_f32 v[6:7], v[0:1], v[72:73] neg_lo:[0,1] neg_hi:[0,1]
	v_pk_add_f32 v[12:13], v[2:3], v[68:69] neg_lo:[0,1] neg_hi:[0,1]
	v_pk_fma_f32 v[20:21], v[0:1], 2.0, v[6:7] op_sel_hi:[1,0,1] neg_lo:[0,0,1] neg_hi:[0,0,1]
	v_pk_add_f32 v[0:1], v[74:75], v[18:19] neg_lo:[0,1] neg_hi:[0,1]
	v_pk_fma_f32 v[40:41], v[2:3], 2.0, v[12:13] op_sel_hi:[1,0,1] neg_lo:[0,0,1] neg_hi:[0,0,1]
	v_pk_fma_f32 v[18:19], v[74:75], 2.0, v[0:1] op_sel_hi:[1,0,1] neg_lo:[0,0,1] neg_hi:[0,0,1]
	v_pk_add_f32 v[52:53], v[6:7], v[0:1] op_sel:[0,1] op_sel_hi:[1,0]
	v_pk_add_f32 v[0:1], v[6:7], v[0:1] op_sel:[0,1] op_sel_hi:[1,0] neg_lo:[0,1] neg_hi:[0,1]
	v_mov_b32_e32 v49, v51
	v_mov_b32_e32 v53, v1
	v_pk_fma_f32 v[6:7], v[6:7], 2.0, v[52:53] op_sel_hi:[1,0,1] neg_lo:[0,0,1] neg_hi:[0,0,1]
	ds_read2_b64 v[0:3], v209 offset0:64 offset1:224
	s_waitcnt lgkmcnt(0)
	s_barrier
	ds_write_b64 v192, v[6:7] offset:3200
	v_pk_add_f32 v[6:7], v[20:21], v[18:19] neg_lo:[0,1] neg_hi:[0,1]
	ds_write_b64 v192, v[6:7] offset:6400
	ds_write_b64 v192, v[52:53] offset:9600
	v_pk_fma_f32 v[18:19], v[20:21], 2.0, v[6:7] op_sel_hi:[1,0,1] neg_lo:[0,0,1] neg_hi:[0,0,1]
	v_pk_add_f32 v[6:7], v[60:61], v[10:11] neg_lo:[0,1] neg_hi:[0,1]
	v_mov_b32_e32 v15, v17
	v_pk_fma_f32 v[10:11], v[60:61], 2.0, v[6:7] op_sel_hi:[1,0,1] neg_lo:[0,0,1] neg_hi:[0,0,1]
	v_mov_b32_e32 v31, v33
	v_pk_add_f32 v[10:11], v[40:41], v[10:11] neg_lo:[0,1] neg_hi:[0,1]
	v_mov_b32_e32 v35, v37
	v_pk_fma_f32 v[20:21], v[40:41], 2.0, v[10:11] op_sel_hi:[1,0,1] neg_lo:[0,0,1] neg_hi:[0,0,1]
	ds_write2_b64 v192, v[18:19], v[20:21] offset1:160
	ds_write_b64 v192, v[10:11] offset:7680
	v_pk_add_f32 v[10:11], v[12:13], v[6:7] op_sel:[0,1] op_sel_hi:[1,0]
	v_pk_add_f32 v[6:7], v[12:13], v[6:7] op_sel:[0,1] op_sel_hi:[1,0] neg_lo:[0,1] neg_hi:[0,1]
	v_mov_b32_e32 v39, v45
	v_mov_b32_e32 v11, v7
	v_pk_fma_f32 v[6:7], v[12:13], 2.0, v[10:11] op_sel_hi:[1,0,1] neg_lo:[0,0,1] neg_hi:[0,0,1]
	ds_write_b64 v192, v[6:7] offset:4480
	ds_write_b64 v192, v[10:11] offset:10880
	v_pk_add_f32 v[6:7], v[0:1], v[48:49] neg_lo:[0,1] neg_hi:[0,1]
	v_pk_add_f32 v[10:11], v[58:59], v[14:15] neg_lo:[0,1] neg_hi:[0,1]
	v_pk_fma_f32 v[0:1], v[0:1], 2.0, v[6:7] op_sel_hi:[1,0,1] neg_lo:[0,0,1] neg_hi:[0,0,1]
	v_pk_fma_f32 v[12:13], v[58:59], 2.0, v[10:11] op_sel_hi:[1,0,1] neg_lo:[0,0,1] neg_hi:[0,0,1]
	v_mov_b32_e32 v27, v29
	v_pk_add_f32 v[12:13], v[0:1], v[12:13] neg_lo:[0,1] neg_hi:[0,1]
	v_mov_b32_e32 v23, v25
	v_pk_fma_f32 v[0:1], v[0:1], 2.0, v[12:13] op_sel_hi:[1,0,1] neg_lo:[0,0,1] neg_hi:[0,0,1]
	ds_write_b64 v63, v[0:1]
	v_pk_add_f32 v[0:1], v[6:7], v[10:11] op_sel:[0,1] op_sel_hi:[1,0]
	v_pk_add_f32 v[10:11], v[6:7], v[10:11] op_sel:[0,1] op_sel_hi:[1,0] neg_lo:[0,1] neg_hi:[0,1]
	v_mov_b32_e32 v47, v9
	v_mov_b32_e32 v1, v11
	v_pk_fma_f32 v[6:7], v[6:7], 2.0, v[0:1] op_sel_hi:[1,0,1] neg_lo:[0,0,1] neg_hi:[0,0,1]
	ds_write_b64 v63, v[6:7] offset:3200
	ds_write_b64 v63, v[12:13] offset:6400
	;; [unrolled: 1-line block ×3, first 2 shown]
	v_pk_add_f32 v[0:1], v[2:3], v[34:35] neg_lo:[0,1] neg_hi:[0,1]
	v_pk_add_f32 v[6:7], v[30:31], v[38:39] neg_lo:[0,1] neg_hi:[0,1]
	;; [unrolled: 1-line block ×3, first 2 shown]
	v_pk_add_f32 v[8:9], v[0:1], v[6:7]
	v_pk_add_f32 v[10:11], v[0:1], v[6:7] neg_lo:[0,1] neg_hi:[0,1]
	s_nop 0
	v_mov_b32_e32 v9, v11
	v_pk_add_f32 v[10:11], v[4:5], v[22:23] neg_lo:[0,1] neg_hi:[0,1]
	s_nop 0
	v_pk_add_f32 v[14:15], v[10:11], v[12:13]
	v_pk_add_f32 v[16:17], v[10:11], v[12:13] neg_lo:[0,1] neg_hi:[0,1]
	s_nop 0
	v_mov_b32_e32 v15, v17
	v_pk_fma_f32 v[16:17], v[0:1], 2.0, v[8:9] op_sel_hi:[1,0,1] neg_lo:[0,0,1] neg_hi:[0,0,1]
	v_pk_fma_f32 v[0:1], v[2:3], 2.0, v[0:1] op_sel_hi:[1,0,1] neg_lo:[0,0,1] neg_hi:[0,0,1]
	v_pk_fma_f32 v[2:3], v[4:5], 2.0, v[10:11] op_sel_hi:[1,0,1] neg_lo:[0,0,1] neg_hi:[0,0,1]
	v_pk_fma_f32 v[4:5], v[30:31], 2.0, v[6:7] op_sel_hi:[1,0,1] neg_lo:[0,0,1] neg_hi:[0,0,1]
	v_pk_fma_f32 v[6:7], v[26:27], 2.0, v[12:13] op_sel_hi:[1,0,1] neg_lo:[0,0,1] neg_hi:[0,0,1]
	v_pk_add_f32 v[4:5], v[0:1], v[4:5] op_sel:[0,1] op_sel_hi:[1,0] neg_lo:[0,1] neg_hi:[0,1]
	v_pk_add_f32 v[6:7], v[2:3], v[6:7] op_sel:[0,1] op_sel_hi:[1,0] neg_lo:[0,1] neg_hi:[0,1]
	v_pk_fma_f32 v[18:19], v[10:11], 2.0, v[14:15] op_sel_hi:[1,0,1] neg_lo:[0,0,1] neg_hi:[0,0,1]
	v_pk_fma_f32 v[0:1], v[0:1], 2.0, v[4:5] op_sel_hi:[1,0,1] neg_lo:[0,0,1] neg_hi:[0,0,1]
	;; [unrolled: 1-line block ×3, first 2 shown]
	v_accvgpr_read_b32 v10, a13
	ds_write2_b64 v67, v[16:17], v[18:19] offset0:32 offset1:192
	ds_write2_b64 v10, v[0:1], v[2:3] offset0:16 offset1:176
	;; [unrolled: 1-line block ×4, first 2 shown]
	s_waitcnt lgkmcnt(0)
	s_barrier
	ds_read2_b64 v[0:3], v191 offset0:64 offset1:224
	ds_read2_b64 v[4:7], v233 offset1:160
	s_waitcnt lgkmcnt(1)
	v_pk_mul_f32 v[8:9], v[220:221], v[0:1] op_sel:[1,0]
	s_nop 0
	v_pk_fma_f32 v[10:11], v[220:221], v[0:1], v[8:9] op_sel:[0,0,1] op_sel_hi:[1,1,0]
	v_pk_fma_f32 v[8:9], v[220:221], v[0:1], v[8:9] op_sel:[0,0,1] op_sel_hi:[0,1,0] neg_lo:[0,0,1] neg_hi:[0,0,1]
	v_pk_mul_f32 v[0:1], v[218:219], v[2:3] op_sel:[1,0]
	s_waitcnt lgkmcnt(0)
	v_pk_mul_f32 v[16:17], v[210:211], v[4:5] op_sel:[1,0]
	v_pk_fma_f32 v[12:13], v[218:219], v[2:3], v[0:1] op_sel:[0,0,1] op_sel_hi:[1,1,0]
	v_pk_fma_f32 v[14:15], v[218:219], v[2:3], v[0:1] op_sel:[0,0,1] op_sel_hi:[0,1,0] neg_lo:[0,0,1] neg_hi:[0,0,1]
	ds_read2_b64 v[0:3], v184 offset0:64 offset1:224
	v_pk_fma_f32 v[20:21], v[210:211], v[4:5], v[16:17] op_sel:[0,0,1] op_sel_hi:[1,1,0]
	v_pk_fma_f32 v[22:23], v[210:211], v[4:5], v[16:17] op_sel:[0,0,1] op_sel_hi:[0,1,0] neg_lo:[0,0,1] neg_hi:[0,0,1]
	v_pk_mul_f32 v[4:5], v[212:213], v[6:7] op_sel:[1,0]
	v_mov_b32_e32 v11, v9
	v_pk_fma_f32 v[24:25], v[212:213], v[6:7], v[4:5] op_sel:[0,0,1] op_sel_hi:[1,1,0]
	v_pk_fma_f32 v[26:27], v[212:213], v[6:7], v[4:5] op_sel:[0,0,1] op_sel_hi:[0,1,0] neg_lo:[0,0,1] neg_hi:[0,0,1]
	s_waitcnt lgkmcnt(0)
	v_pk_mul_f32 v[4:5], v[226:227], v[0:1] op_sel:[1,0]
	v_mov_b32_e32 v13, v15
	v_pk_fma_f32 v[28:29], v[226:227], v[0:1], v[4:5] op_sel:[0,0,1] op_sel_hi:[1,1,0]
	v_pk_fma_f32 v[30:31], v[226:227], v[0:1], v[4:5] op_sel:[0,0,1] op_sel_hi:[0,1,0] neg_lo:[0,0,1] neg_hi:[0,0,1]
	v_pk_mul_f32 v[0:1], v[222:223], v[2:3] op_sel:[1,0]
	ds_read2_b64 v[4:7], v188 offset1:160
	v_pk_fma_f32 v[32:33], v[222:223], v[2:3], v[0:1] op_sel:[0,0,1] op_sel_hi:[1,1,0]
	v_pk_fma_f32 v[34:35], v[222:223], v[2:3], v[0:1] op_sel:[0,0,1] op_sel_hi:[0,1,0] neg_lo:[0,0,1] neg_hi:[0,0,1]
	ds_read2_b64 v[0:3], v192 offset1:160
	v_mov_b32_e32 v21, v23
	v_mov_b32_e32 v25, v27
	s_waitcnt lgkmcnt(1)
	v_pk_mul_f32 v[36:37], v[204:205], v[4:5] op_sel:[1,0]
	v_mov_b32_e32 v29, v31
	s_waitcnt lgkmcnt(0)
	v_pk_add_f32 v[40:41], v[0:1], v[10:11] neg_lo:[0,1] neg_hi:[0,1]
	v_pk_add_f32 v[44:45], v[2:3], v[12:13] neg_lo:[0,1] neg_hi:[0,1]
	v_pk_fma_f32 v[16:17], v[0:1], 2.0, v[40:41] op_sel_hi:[1,0,1] neg_lo:[0,0,1] neg_hi:[0,0,1]
	v_pk_fma_f32 v[18:19], v[2:3], 2.0, v[44:45] op_sel_hi:[1,0,1] neg_lo:[0,0,1] neg_hi:[0,0,1]
	ds_read2_b64 v[0:3], v209 offset0:64 offset1:224
	ds_read2_b64 v[8:11], v185 offset1:160
	ds_read2_b64 v[12:15], v195 offset0:64 offset1:224
	ds_write2_b64 v192, v[16:17], v[18:19] offset1:160
	ds_read2_b64 v[16:19], v189 offset0:64 offset1:224
	s_waitcnt lgkmcnt(4)
	v_pk_add_f32 v[20:21], v[0:1], v[20:21] neg_lo:[0,1] neg_hi:[0,1]
	v_pk_add_f32 v[22:23], v[2:3], v[24:25] neg_lo:[0,1] neg_hi:[0,1]
	v_pk_fma_f32 v[0:1], v[0:1], 2.0, v[20:21] op_sel_hi:[1,0,1] neg_lo:[0,0,1] neg_hi:[0,0,1]
	v_pk_fma_f32 v[2:3], v[2:3], 2.0, v[22:23] op_sel_hi:[1,0,1] neg_lo:[0,0,1] neg_hi:[0,0,1]
	v_pk_fma_f32 v[38:39], v[204:205], v[4:5], v[36:37] op_sel:[0,0,1] op_sel_hi:[1,1,0]
	v_pk_fma_f32 v[4:5], v[204:205], v[4:5], v[36:37] op_sel:[0,0,1] op_sel_hi:[0,1,0] neg_lo:[0,0,1] neg_hi:[0,0,1]
	v_pk_mul_f32 v[36:37], v[206:207], v[6:7] op_sel:[1,0]
	ds_write2_b64 v209, v[0:1], v[2:3] offset0:64 offset1:224
	ds_read2_b64 v[0:3], v128 offset1:160
	v_pk_fma_f32 v[46:47], v[206:207], v[6:7], v[36:37] op_sel:[0,0,1] op_sel_hi:[1,1,0]
	v_pk_fma_f32 v[6:7], v[206:207], v[6:7], v[36:37] op_sel:[0,0,1] op_sel_hi:[0,1,0] neg_lo:[0,0,1] neg_hi:[0,0,1]
	s_waitcnt lgkmcnt(2)
	v_pk_mul_f32 v[36:37], v[228:229], v[16:17] op_sel:[1,0]
	v_mov_b32_e32 v33, v35
	v_pk_fma_f32 v[48:49], v[228:229], v[16:17], v[36:37] op_sel:[0,0,1] op_sel_hi:[1,1,0]
	v_pk_fma_f32 v[16:17], v[228:229], v[16:17], v[36:37] op_sel:[0,0,1] op_sel_hi:[0,1,0] neg_lo:[0,0,1] neg_hi:[0,0,1]
	v_pk_mul_f32 v[36:37], v[224:225], v[18:19] op_sel:[1,0]
	v_mov_b32_e32 v49, v17
	v_pk_fma_f32 v[50:51], v[224:225], v[18:19], v[36:37] op_sel:[0,0,1] op_sel_hi:[1,1,0]
	v_pk_fma_f32 v[18:19], v[224:225], v[18:19], v[36:37] op_sel:[0,0,1] op_sel_hi:[0,1,0] neg_lo:[0,0,1] neg_hi:[0,0,1]
	v_mov_b32_e32 v51, v19
	v_mov_b32_e32 v39, v5
	;; [unrolled: 1-line block ×3, first 2 shown]
	s_waitcnt lgkmcnt(0)
	v_pk_add_f32 v[16:17], v[0:1], v[48:49] neg_lo:[0,1] neg_hi:[0,1]
	v_pk_add_f32 v[18:19], v[2:3], v[50:51] neg_lo:[0,1] neg_hi:[0,1]
	;; [unrolled: 1-line block ×6, first 2 shown]
	v_pk_fma_f32 v[0:1], v[0:1], 2.0, v[16:17] op_sel_hi:[1,0,1] neg_lo:[0,0,1] neg_hi:[0,0,1]
	v_pk_fma_f32 v[2:3], v[2:3], 2.0, v[18:19] op_sel_hi:[1,0,1] neg_lo:[0,0,1] neg_hi:[0,0,1]
	;; [unrolled: 1-line block ×6, first 2 shown]
	ds_write2_b64 v191, v[40:41], v[44:45] offset0:64 offset1:224
	ds_write2_b64 v233, v[20:21], v[22:23] offset1:160
	ds_write_b64 v192, v[24:25] offset:17920
	ds_write2_b64 v185, v[8:9], v[10:11] offset1:160
	ds_write2_b64 v43, v[26:27], v[4:5] offset0:32 offset1:192
	ds_write2_b64 v195, v[12:13], v[14:15] offset0:64 offset1:224
	;; [unrolled: 1-line block ×3, first 2 shown]
	ds_write2_b64 v128, v[0:1], v[2:3] offset1:160
	ds_write_b64 v192, v[18:19] offset:24320
	s_waitcnt lgkmcnt(0)
	s_barrier
	ds_read2_b64 v[0:3], v192 offset1:160
	v_mov_b32_e32 v8, s0
	v_mov_b32_e32 v9, s1
	s_mov_b32 s0, 0x47ae147b
	s_mov_b32 s1, 0x3f347ae1
	s_waitcnt lgkmcnt(0)
	v_mul_f32_e32 v4, v131, v1
	v_fmac_f32_e32 v4, v130, v0
	v_mul_f32_e32 v0, v131, v0
	v_fma_f32 v0, v130, v1, -v0
	v_cvt_f64_f32_e32 v[0:1], v0
	v_cvt_f64_f32_e32 v[4:5], v4
	v_mul_f64 v[0:1], v[0:1], s[0:1]
	v_mul_f64 v[4:5], v[4:5], s[0:1]
	v_cvt_f32_f64_e32 v11, v[0:1]
	v_mad_u64_u32 v[0:1], s[2:3], s4, v122, 0
	v_cvt_f32_f64_e32 v10, v[4:5]
	v_mov_b32_e32 v4, v1
	v_mad_u64_u32 v[12:13], s[2:3], s5, v122, v[4:5]
	ds_read2_b64 v[4:7], v209 offset0:64 offset1:224
	v_accvgpr_read_b32 v14, a0
	v_accvgpr_read_b32 v15, a2
	v_lshl_add_u64 v[40:41], v[14:15], 3, v[8:9]
	v_mov_b32_e32 v1, v12
	s_waitcnt lgkmcnt(0)
	v_mul_f32_e32 v8, v183, v5
	v_fmac_f32_e32 v8, v182, v4
	v_cvt_f64_f32_e32 v[8:9], v8
	v_lshl_add_u64 v[0:1], v[0:1], 3, v[40:41]
	v_mul_f64 v[8:9], v[8:9], s[0:1]
	global_store_dwordx2 v[0:1], v[10:11], off
	v_cvt_f32_f64_e32 v12, v[8:9]
	ds_read2_b64 v[8:11], v185 offset1:160
	v_mul_f32_e32 v4, v183, v4
	v_fma_f32 v4, v182, v5, -v4
	v_cvt_f64_f32_e32 v[4:5], v4
	v_mul_f64 v[4:5], v[4:5], s[0:1]
	v_cvt_f32_f64_e32 v13, v[4:5]
	s_waitcnt lgkmcnt(0)
	v_mul_f32_e32 v4, v173, v9
	v_mad_u64_u32 v[0:1], s[2:3], s4, v129, v[0:1]
	v_fmac_f32_e32 v4, v172, v8
	s_mul_i32 s2, s5, 0xa00
	v_cvt_f64_f32_e32 v[4:5], v4
	v_add_u32_e32 v1, s2, v1
	v_mul_f64 v[4:5], v[4:5], s[0:1]
	global_store_dwordx2 v[0:1], v[12:13], off
	v_cvt_f32_f64_e32 v4, v[4:5]
	v_mul_f32_e32 v5, v173, v8
	ds_read2_b64 v[12:15], v195 offset0:64 offset1:224
	v_fma_f32 v5, v172, v9, -v5
	v_cvt_f64_f32_e32 v[8:9], v5
	v_mul_f64 v[8:9], v[8:9], s[0:1]
	v_mad_u64_u32 v[0:1], s[6:7], s4, v129, v[0:1]
	v_cvt_f32_f64_e32 v5, v[8:9]
	v_add_u32_e32 v1, s2, v1
	global_store_dwordx2 v[0:1], v[4:5], off
	s_waitcnt lgkmcnt(0)
	v_mul_f32_e32 v4, v155, v13
	v_fmac_f32_e32 v4, v154, v12
	v_cvt_f64_f32_e32 v[4:5], v4
	v_mul_f64 v[4:5], v[4:5], s[0:1]
	v_cvt_f32_f64_e32 v4, v[4:5]
	v_mul_f32_e32 v5, v155, v12
	ds_read2_b64 v[16:19], v128 offset1:160
	v_fma_f32 v5, v154, v13, -v5
	v_cvt_f64_f32_e32 v[8:9], v5
	v_mul_f64 v[8:9], v[8:9], s[0:1]
	v_mad_u64_u32 v[0:1], s[6:7], s4, v129, v[0:1]
	v_cvt_f32_f64_e32 v5, v[8:9]
	v_add_u32_e32 v1, s2, v1
	global_store_dwordx2 v[0:1], v[4:5], off
	s_waitcnt lgkmcnt(0)
	v_mul_f32_e32 v4, v149, v17
	v_fmac_f32_e32 v4, v148, v16
	v_cvt_f64_f32_e32 v[4:5], v4
	v_mul_f64 v[4:5], v[4:5], s[0:1]
	v_cvt_f32_f64_e32 v4, v[4:5]
	v_mul_f32_e32 v5, v149, v16
	v_fma_f32 v5, v148, v17, -v5
	v_cvt_f64_f32_e32 v[8:9], v5
	v_mul_f64 v[8:9], v[8:9], s[0:1]
	v_accvgpr_read_b32 v13, a1
	v_cvt_f32_f64_e32 v5, v[8:9]
	v_mad_u64_u32 v[8:9], s[6:7], s4, v13, 0
	ds_read2_b64 v[20:23], v191 offset0:64 offset1:224
	v_mov_b32_e32 v12, v9
	v_mad_u64_u32 v[12:13], s[6:7], s5, v13, v[12:13]
	v_mov_b32_e32 v9, v12
	v_lshl_add_u64 v[8:9], v[8:9], 3, v[40:41]
	global_store_dwordx2 v[8:9], v[4:5], off
	s_waitcnt lgkmcnt(0)
	v_mul_f32_e32 v4, v147, v21
	v_fmac_f32_e32 v4, v146, v20
	v_cvt_f64_f32_e32 v[4:5], v4
	v_mul_f64 v[4:5], v[4:5], s[0:1]
	v_cvt_f32_f64_e32 v4, v[4:5]
	v_mul_f32_e32 v5, v147, v20
	ds_read2_b64 v[24:27], v233 offset1:160
	v_fma_f32 v5, v146, v21, -v5
	v_cvt_f64_f32_e32 v[8:9], v5
	v_mov_b32_e32 v16, 0x1400
	v_mul_f64 v[8:9], v[8:9], s[0:1]
	v_mad_u64_u32 v[0:1], s[6:7], s4, v16, v[0:1]
	s_mul_i32 s3, s5, 0x1400
	v_cvt_f32_f64_e32 v5, v[8:9]
	v_add_u32_e32 v1, s3, v1
	global_store_dwordx2 v[0:1], v[4:5], off
	s_waitcnt lgkmcnt(0)
	v_mul_f32_e32 v4, v153, v25
	v_fmac_f32_e32 v4, v152, v24
	v_cvt_f64_f32_e32 v[4:5], v4
	v_mul_f64 v[4:5], v[4:5], s[0:1]
	v_cvt_f32_f64_e32 v4, v[4:5]
	v_mul_f32_e32 v5, v153, v24
	ds_read2_b64 v[28:31], v184 offset0:64 offset1:224
	v_fma_f32 v5, v152, v25, -v5
	v_cvt_f64_f32_e32 v[8:9], v5
	v_mul_f64 v[8:9], v[8:9], s[0:1]
	v_mad_u64_u32 v[0:1], s[6:7], s4, v129, v[0:1]
	v_cvt_f32_f64_e32 v5, v[8:9]
	v_add_u32_e32 v1, s2, v1
	global_store_dwordx2 v[0:1], v[4:5], off
	s_waitcnt lgkmcnt(0)
	v_mul_f32_e32 v4, v159, v29
	v_fmac_f32_e32 v4, v158, v28
	v_cvt_f64_f32_e32 v[4:5], v4
	v_mul_f64 v[4:5], v[4:5], s[0:1]
	v_cvt_f32_f64_e32 v4, v[4:5]
	v_mul_f32_e32 v5, v159, v28
	ds_read2_b64 v[32:35], v188 offset1:160
	v_fma_f32 v5, v158, v29, -v5
	v_cvt_f64_f32_e32 v[8:9], v5
	v_mul_f64 v[8:9], v[8:9], s[0:1]
	v_mad_u64_u32 v[0:1], s[6:7], s4, v129, v[0:1]
	v_cvt_f32_f64_e32 v5, v[8:9]
	v_add_u32_e32 v1, s2, v1
	global_store_dwordx2 v[0:1], v[4:5], off
	s_waitcnt lgkmcnt(0)
	v_mul_f32_e32 v4, v157, v33
	v_fmac_f32_e32 v4, v156, v32
	v_cvt_f64_f32_e32 v[4:5], v4
	v_mul_f64 v[4:5], v[4:5], s[0:1]
	v_cvt_f32_f64_e32 v4, v[4:5]
	v_mul_f32_e32 v5, v157, v32
	v_fma_f32 v5, v156, v33, -v5
	v_cvt_f64_f32_e32 v[8:9], v5
	v_mul_f64 v[8:9], v[8:9], s[0:1]
	v_accvgpr_read_b32 v13, a3
	v_cvt_f32_f64_e32 v5, v[8:9]
	v_mad_u64_u32 v[8:9], s[6:7], s4, v13, 0
	ds_read2_b64 v[36:39], v189 offset0:64 offset1:224
	v_mov_b32_e32 v12, v9
	v_mad_u64_u32 v[12:13], s[6:7], s5, v13, v[12:13]
	v_mov_b32_e32 v9, v12
	v_lshl_add_u64 v[8:9], v[8:9], 3, v[40:41]
	global_store_dwordx2 v[8:9], v[4:5], off
	s_waitcnt lgkmcnt(0)
	v_mul_f32_e32 v4, v151, v37
	v_fmac_f32_e32 v4, v150, v36
	v_cvt_f64_f32_e32 v[4:5], v4
	v_mul_f64 v[4:5], v[4:5], s[0:1]
	v_cvt_f32_f64_e32 v4, v[4:5]
	v_mul_f32_e32 v5, v151, v36
	v_fma_f32 v5, v150, v37, -v5
	v_cvt_f64_f32_e32 v[8:9], v5
	v_mul_f64 v[8:9], v[8:9], s[0:1]
	v_mad_u64_u32 v[0:1], s[6:7], s4, v16, v[0:1]
	v_cvt_f32_f64_e32 v5, v[8:9]
	v_add_u32_e32 v1, s3, v1
	global_store_dwordx2 v[0:1], v[4:5], off
	v_mul_f32_e32 v4, v179, v3
	v_fmac_f32_e32 v4, v178, v2
	v_mul_f32_e32 v2, v179, v2
	v_fma_f32 v2, v178, v3, -v2
	v_cvt_f64_f32_e32 v[4:5], v4
	v_cvt_f64_f32_e32 v[2:3], v2
	v_mul_f64 v[4:5], v[4:5], s[0:1]
	v_mul_f64 v[2:3], v[2:3], s[0:1]
	v_cvt_f32_f64_e32 v4, v[4:5]
	v_cvt_f32_f64_e32 v5, v[2:3]
	v_mov_b32_e32 v2, 0xffffab00
	v_mad_u64_u32 v[0:1], s[6:7], s4, v2, v[0:1]
	v_mul_f32_e32 v2, v181, v7
	v_fmac_f32_e32 v2, v180, v6
	v_cvt_f64_f32_e32 v[2:3], v2
	s_mul_i32 s3, s5, 0xffffab00
	v_mul_f64 v[2:3], v[2:3], s[0:1]
	s_sub_i32 s3, s3, s4
	v_cvt_f32_f64_e32 v2, v[2:3]
	v_mul_f32_e32 v3, v181, v6
	v_add_u32_e32 v1, s3, v1
	v_fma_f32 v3, v180, v7, -v3
	global_store_dwordx2 v[0:1], v[4:5], off
	v_cvt_f64_f32_e32 v[4:5], v3
	v_mul_f64 v[4:5], v[4:5], s[0:1]
	v_mad_u64_u32 v[0:1], s[6:7], s4, v129, v[0:1]
	v_cvt_f32_f64_e32 v3, v[4:5]
	v_add_u32_e32 v1, s2, v1
	global_store_dwordx2 v[0:1], v[2:3], off
	v_mul_f32_e32 v2, v175, v11
	v_fmac_f32_e32 v2, v174, v10
	v_cvt_f64_f32_e32 v[2:3], v2
	v_mul_f64 v[2:3], v[2:3], s[0:1]
	v_cvt_f32_f64_e32 v2, v[2:3]
	v_mul_f32_e32 v3, v175, v10
	v_fma_f32 v3, v174, v11, -v3
	v_cvt_f64_f32_e32 v[4:5], v3
	v_mul_f64 v[4:5], v[4:5], s[0:1]
	v_mad_u64_u32 v[0:1], s[6:7], s4, v129, v[0:1]
	v_cvt_f32_f64_e32 v3, v[4:5]
	v_add_u32_e32 v1, s2, v1
	global_store_dwordx2 v[0:1], v[2:3], off
	v_mul_f32_e32 v2, v141, v15
	v_fmac_f32_e32 v2, v140, v14
	v_cvt_f64_f32_e32 v[2:3], v2
	v_mul_f64 v[2:3], v[2:3], s[0:1]
	v_cvt_f32_f64_e32 v2, v[2:3]
	v_mul_f32_e32 v3, v141, v14
	v_fma_f32 v3, v140, v15, -v3
	;; [unrolled: 13-line block ×8, first 2 shown]
	v_cvt_f64_f32_e32 v[4:5], v3
	v_mul_f64 v[4:5], v[4:5], s[0:1]
	v_mad_u64_u32 v[0:1], s[0:1], s4, v129, v[0:1]
	v_cvt_f32_f64_e32 v3, v[4:5]
	v_add_u32_e32 v1, s2, v1
	global_store_dwordx2 v[0:1], v[2:3], off
.LBB0_2:
	s_endpgm
	.section	.rodata,"a",@progbits
	.p2align	6, 0x0
	.amdhsa_kernel bluestein_single_back_len3200_dim1_sp_op_CI_CI
		.amdhsa_group_segment_fixed_size 25600
		.amdhsa_private_segment_fixed_size 0
		.amdhsa_kernarg_size 104
		.amdhsa_user_sgpr_count 2
		.amdhsa_user_sgpr_dispatch_ptr 0
		.amdhsa_user_sgpr_queue_ptr 0
		.amdhsa_user_sgpr_kernarg_segment_ptr 1
		.amdhsa_user_sgpr_dispatch_id 0
		.amdhsa_user_sgpr_kernarg_preload_length 0
		.amdhsa_user_sgpr_kernarg_preload_offset 0
		.amdhsa_user_sgpr_private_segment_size 0
		.amdhsa_uses_dynamic_stack 0
		.amdhsa_enable_private_segment 0
		.amdhsa_system_sgpr_workgroup_id_x 1
		.amdhsa_system_sgpr_workgroup_id_y 0
		.amdhsa_system_sgpr_workgroup_id_z 0
		.amdhsa_system_sgpr_workgroup_info 0
		.amdhsa_system_vgpr_workitem_id 0
		.amdhsa_next_free_vgpr 277
		.amdhsa_next_free_sgpr 26
		.amdhsa_accum_offset 256
		.amdhsa_reserve_vcc 1
		.amdhsa_float_round_mode_32 0
		.amdhsa_float_round_mode_16_64 0
		.amdhsa_float_denorm_mode_32 3
		.amdhsa_float_denorm_mode_16_64 3
		.amdhsa_dx10_clamp 1
		.amdhsa_ieee_mode 1
		.amdhsa_fp16_overflow 0
		.amdhsa_tg_split 0
		.amdhsa_exception_fp_ieee_invalid_op 0
		.amdhsa_exception_fp_denorm_src 0
		.amdhsa_exception_fp_ieee_div_zero 0
		.amdhsa_exception_fp_ieee_overflow 0
		.amdhsa_exception_fp_ieee_underflow 0
		.amdhsa_exception_fp_ieee_inexact 0
		.amdhsa_exception_int_div_zero 0
	.end_amdhsa_kernel
	.text
.Lfunc_end0:
	.size	bluestein_single_back_len3200_dim1_sp_op_CI_CI, .Lfunc_end0-bluestein_single_back_len3200_dim1_sp_op_CI_CI
                                        ; -- End function
	.section	.AMDGPU.csdata,"",@progbits
; Kernel info:
; codeLenInByte = 19308
; NumSgprs: 32
; NumVgprs: 256
; NumAgprs: 21
; TotalNumVgprs: 277
; ScratchSize: 0
; MemoryBound: 0
; FloatMode: 240
; IeeeMode: 1
; LDSByteSize: 25600 bytes/workgroup (compile time only)
; SGPRBlocks: 3
; VGPRBlocks: 34
; NumSGPRsForWavesPerEU: 32
; NumVGPRsForWavesPerEU: 277
; AccumOffset: 256
; Occupancy: 1
; WaveLimiterHint : 1
; COMPUTE_PGM_RSRC2:SCRATCH_EN: 0
; COMPUTE_PGM_RSRC2:USER_SGPR: 2
; COMPUTE_PGM_RSRC2:TRAP_HANDLER: 0
; COMPUTE_PGM_RSRC2:TGID_X_EN: 1
; COMPUTE_PGM_RSRC2:TGID_Y_EN: 0
; COMPUTE_PGM_RSRC2:TGID_Z_EN: 0
; COMPUTE_PGM_RSRC2:TIDIG_COMP_CNT: 0
; COMPUTE_PGM_RSRC3_GFX90A:ACCUM_OFFSET: 63
; COMPUTE_PGM_RSRC3_GFX90A:TG_SPLIT: 0
	.text
	.p2alignl 6, 3212836864
	.fill 256, 4, 3212836864
	.type	__hip_cuid_63d6d5c2e8c0872a,@object ; @__hip_cuid_63d6d5c2e8c0872a
	.section	.bss,"aw",@nobits
	.globl	__hip_cuid_63d6d5c2e8c0872a
__hip_cuid_63d6d5c2e8c0872a:
	.byte	0                               ; 0x0
	.size	__hip_cuid_63d6d5c2e8c0872a, 1

	.ident	"AMD clang version 19.0.0git (https://github.com/RadeonOpenCompute/llvm-project roc-6.4.0 25133 c7fe45cf4b819c5991fe208aaa96edf142730f1d)"
	.section	".note.GNU-stack","",@progbits
	.addrsig
	.addrsig_sym __hip_cuid_63d6d5c2e8c0872a
	.amdgpu_metadata
---
amdhsa.kernels:
  - .agpr_count:     21
    .args:
      - .actual_access:  read_only
        .address_space:  global
        .offset:         0
        .size:           8
        .value_kind:     global_buffer
      - .actual_access:  read_only
        .address_space:  global
        .offset:         8
        .size:           8
        .value_kind:     global_buffer
      - .actual_access:  read_only
        .address_space:  global
        .offset:         16
        .size:           8
        .value_kind:     global_buffer
      - .actual_access:  read_only
        .address_space:  global
        .offset:         24
        .size:           8
        .value_kind:     global_buffer
      - .actual_access:  read_only
        .address_space:  global
        .offset:         32
        .size:           8
        .value_kind:     global_buffer
      - .offset:         40
        .size:           8
        .value_kind:     by_value
      - .address_space:  global
        .offset:         48
        .size:           8
        .value_kind:     global_buffer
      - .address_space:  global
        .offset:         56
        .size:           8
        .value_kind:     global_buffer
      - .address_space:  global
        .offset:         64
        .size:           8
        .value_kind:     global_buffer
      - .address_space:  global
        .offset:         72
        .size:           8
        .value_kind:     global_buffer
      - .offset:         80
        .size:           4
        .value_kind:     by_value
      - .address_space:  global
        .offset:         88
        .size:           8
        .value_kind:     global_buffer
      - .address_space:  global
        .offset:         96
        .size:           8
        .value_kind:     global_buffer
    .group_segment_fixed_size: 25600
    .kernarg_segment_align: 8
    .kernarg_segment_size: 104
    .language:       OpenCL C
    .language_version:
      - 2
      - 0
    .max_flat_workgroup_size: 160
    .name:           bluestein_single_back_len3200_dim1_sp_op_CI_CI
    .private_segment_fixed_size: 0
    .sgpr_count:     32
    .sgpr_spill_count: 0
    .symbol:         bluestein_single_back_len3200_dim1_sp_op_CI_CI.kd
    .uniform_work_group_size: 1
    .uses_dynamic_stack: false
    .vgpr_count:     277
    .vgpr_spill_count: 0
    .wavefront_size: 64
amdhsa.target:   amdgcn-amd-amdhsa--gfx950
amdhsa.version:
  - 1
  - 2
...

	.end_amdgpu_metadata
